;; amdgpu-corpus repo=ROCm/rocFFT kind=compiled arch=gfx906 opt=O3
	.text
	.amdgcn_target "amdgcn-amd-amdhsa--gfx906"
	.amdhsa_code_object_version 6
	.protected	bluestein_single_back_len195_dim1_dp_op_CI_CI ; -- Begin function bluestein_single_back_len195_dim1_dp_op_CI_CI
	.globl	bluestein_single_back_len195_dim1_dp_op_CI_CI
	.p2align	8
	.type	bluestein_single_back_len195_dim1_dp_op_CI_CI,@function
bluestein_single_back_len195_dim1_dp_op_CI_CI: ; @bluestein_single_back_len195_dim1_dp_op_CI_CI
; %bb.0:
	s_load_dwordx4 s[8:11], s[4:5], 0x28
	v_mul_u32_u24_e32 v1, 0x13b2, v0
	s_mov_b64 s[50:51], s[2:3]
	v_lshrrev_b32_e32 v4, 16, v1
	s_mov_b64 s[48:49], s[0:1]
	v_lshl_add_u32 v7, s6, 2, v4
	v_mov_b32_e32 v8, 0
	s_add_u32 s48, s48, s7
	s_waitcnt lgkmcnt(0)
	v_cmp_gt_u64_e32 vcc, s[8:9], v[7:8]
	s_addc_u32 s49, s49, 0
	s_and_saveexec_b64 s[0:1], vcc
	s_cbranch_execz .LBB0_15
; %bb.1:
	s_load_dwordx4 s[0:3], s[4:5], 0x18
	s_load_dwordx2 s[16:17], s[4:5], 0x0
	v_mov_b32_e32 v3, v7
	v_mul_lo_u16_e32 v1, 13, v4
	v_sub_u16_e32 v32, v0, v1
	s_waitcnt lgkmcnt(0)
	s_load_dwordx4 s[12:15], s[0:1], 0x0
	buffer_store_dword v3, off, s[48:51], 0 offset:4 ; 4-byte Folded Spill
	s_nop 0
	buffer_store_dword v4, off, s[48:51], 0 offset:8 ; 4-byte Folded Spill
	v_lshlrev_b32_e32 v243, 4, v32
	v_mov_b32_e32 v11, s17
	s_load_dwordx2 s[6:7], s[4:5], 0x38
	s_waitcnt lgkmcnt(0)
	v_mad_u64_u32 v[5:6], s[0:1], s12, v32, 0
	v_mad_u64_u32 v[0:1], s[0:1], s14, v7, 0
	v_mov_b32_e32 v2, v6
	v_mad_u64_u32 v[6:7], s[0:1], s15, v7, v[1:2]
	v_mov_b32_e32 v1, v6
	v_lshlrev_b64 v[0:1], 4, v[0:1]
	v_mad_u64_u32 v[2:3], s[0:1], s13, v32, v[2:3]
	v_mov_b32_e32 v3, s11
	s_mul_i32 s0, s13, 0xf0
	v_mov_b32_e32 v6, v2
	v_add_co_u32_e32 v2, vcc, s10, v0
	v_addc_co_u32_e32 v3, vcc, v3, v1, vcc
	v_lshlrev_b64 v[0:1], 4, v[5:6]
	s_mul_hi_u32 s1, s12, 0xf0
	v_add_co_u32_e32 v0, vcc, v2, v0
	v_addc_co_u32_e32 v1, vcc, v3, v1, vcc
	s_add_i32 s0, s1, s0
	s_mul_i32 s1, s12, 0xf0
	v_mov_b32_e32 v5, s0
	v_add_co_u32_e32 v9, vcc, s1, v0
	v_addc_co_u32_e32 v10, vcc, v1, v5, vcc
	global_load_dwordx4 v[5:8], v[0:1], off
	global_load_dwordx4 v[52:55], v[9:10], off
	global_load_dwordx4 v[48:51], v243, s[16:17]
	global_load_dwordx4 v[110:113], v243, s[16:17] offset:240
	v_mov_b32_e32 v1, s0
	v_add_co_u32_e32 v0, vcc, s1, v9
	v_addc_co_u32_e32 v1, vcc, v10, v1, vcc
	v_mov_b32_e32 v10, s0
	v_add_co_u32_e32 v9, vcc, s1, v0
	v_addc_co_u32_e32 v10, vcc, v1, v10, vcc
	global_load_dwordx4 v[56:59], v[0:1], off
	global_load_dwordx4 v[60:63], v[9:10], off
	global_load_dwordx4 v[122:125], v243, s[16:17] offset:480
	global_load_dwordx4 v[33:36], v243, s[16:17] offset:720
	v_mov_b32_e32 v1, s0
	v_add_co_u32_e32 v0, vcc, s1, v9
	v_addc_co_u32_e32 v1, vcc, v10, v1, vcc
	global_load_dwordx4 v[64:67], v[0:1], off
	v_mov_b32_e32 v9, s0
	v_add_co_u32_e32 v0, vcc, s1, v0
	v_addc_co_u32_e32 v1, vcc, v1, v9, vcc
	global_load_dwordx4 v[68:71], v[0:1], off
	global_load_dwordx4 v[118:121], v243, s[16:17] offset:960
	global_load_dwordx4 v[28:31], v243, s[16:17] offset:1200
	v_add_co_u32_e32 v0, vcc, s1, v0
	v_addc_co_u32_e32 v1, vcc, v1, v9, vcc
	global_load_dwordx4 v[72:75], v[0:1], off
	v_add_co_u32_e32 v0, vcc, s1, v0
	v_addc_co_u32_e32 v1, vcc, v1, v9, vcc
	global_load_dwordx4 v[76:79], v[0:1], off
	global_load_dwordx4 v[114:117], v243, s[16:17] offset:1440
	global_load_dwordx4 v[20:23], v243, s[16:17] offset:1680
	v_add_co_u32_e32 v0, vcc, s1, v0
	v_addc_co_u32_e32 v1, vcc, v1, v9, vcc
	global_load_dwordx4 v[80:83], v[0:1], off
	;; [unrolled: 8-line block ×4, first 2 shown]
	global_load_dwordx4 v[24:27], v243, s[16:17] offset:2880
	v_and_b32_e32 v4, 3, v4
	v_mul_u32_u24_e32 v4, 0xc3, v4
	v_lshlrev_b32_e32 v47, 4, v4
	v_add_u32_e32 v234, v47, v243
	v_add_co_u32_e32 v232, vcc, s16, v243
	v_addc_co_u32_e32 v233, vcc, 0, v11, vcc
	v_cmp_gt_u16_e32 vcc, 2, v32
	s_waitcnt vmcnt(23)
	v_mul_f64 v[9:10], v[7:8], v[50:51]
	s_waitcnt vmcnt(22)
	v_mul_f64 v[102:103], v[54:55], v[112:113]
	v_mul_f64 v[104:105], v[52:53], v[112:113]
	v_mul_f64 v[100:101], v[5:6], v[50:51]
	v_fma_f64 v[5:6], v[5:6], v[48:49], v[9:10]
	v_fma_f64 v[52:53], v[52:53], v[110:111], v[102:103]
	buffer_store_dword v110, off, s[48:51], 0 offset:140 ; 4-byte Folded Spill
	s_nop 0
	buffer_store_dword v111, off, s[48:51], 0 offset:144 ; 4-byte Folded Spill
	buffer_store_dword v112, off, s[48:51], 0 offset:148 ; 4-byte Folded Spill
	;; [unrolled: 1-line block ×3, first 2 shown]
	s_waitcnt vmcnt(23)
	v_mul_f64 v[106:107], v[58:59], v[124:125]
	s_waitcnt vmcnt(22)
	v_mul_f64 v[9:10], v[62:63], v[35:36]
	v_mul_f64 v[108:109], v[56:57], v[124:125]
	v_fma_f64 v[7:8], v[7:8], v[48:49], -v[100:101]
	v_mul_f64 v[100:101], v[60:61], v[35:36]
	v_fma_f64 v[56:57], v[56:57], v[122:123], v[106:107]
	buffer_store_dword v122, off, s[48:51], 0 offset:188 ; 4-byte Folded Spill
	s_nop 0
	buffer_store_dword v123, off, s[48:51], 0 offset:192 ; 4-byte Folded Spill
	buffer_store_dword v124, off, s[48:51], 0 offset:196 ; 4-byte Folded Spill
	;; [unrolled: 1-line block ×3, first 2 shown]
	s_load_dwordx4 s[8:11], s[2:3], 0x0
	v_fma_f64 v[60:61], v[60:61], v[33:34], v[9:10]
	s_waitcnt vmcnt(23)
	v_mul_f64 v[102:103], v[66:67], v[120:121]
	buffer_store_dword v33, off, s[48:51], 0 offset:92 ; 4-byte Folded Spill
	s_nop 0
	buffer_store_dword v34, off, s[48:51], 0 offset:96 ; 4-byte Folded Spill
	buffer_store_dword v35, off, s[48:51], 0 offset:100 ; 4-byte Folded Spill
	;; [unrolled: 1-line block ×3, first 2 shown]
	s_waitcnt vmcnt(23)
	v_mul_f64 v[10:11], v[72:73], v[116:117]
	v_fma_f64 v[54:55], v[54:55], v[110:111], -v[104:105]
	v_mul_f64 v[104:105], v[64:65], v[120:121]
	v_fma_f64 v[64:65], v[64:65], v[118:119], v[102:103]
	buffer_store_dword v118, off, s[48:51], 0 offset:172 ; 4-byte Folded Spill
	s_nop 0
	buffer_store_dword v119, off, s[48:51], 0 offset:176 ; 4-byte Folded Spill
	buffer_store_dword v120, off, s[48:51], 0 offset:180 ; 4-byte Folded Spill
	;; [unrolled: 1-line block ×3, first 2 shown]
	v_fma_f64 v[58:59], v[58:59], v[122:123], -v[108:109]
	v_fma_f64 v[62:63], v[62:63], v[33:34], -v[100:101]
	;; [unrolled: 1-line block ×3, first 2 shown]
	ds_write_b128 v234, v[5:8]
	ds_write_b128 v234, v[52:55] offset:240
	ds_write_b128 v234, v[56:59] offset:480
	;; [unrolled: 1-line block ×4, first 2 shown]
	v_mul_f64 v[4:5], v[70:71], v[30:31]
	v_mul_f64 v[8:9], v[74:75], v[116:117]
	;; [unrolled: 1-line block ×3, first 2 shown]
	s_waitcnt vmcnt(26)
	v_mul_f64 v[52:53], v[78:79], v[22:23]
	s_waitcnt vmcnt(23)
	v_mul_f64 v[56:57], v[82:83], v[43:44]
	;; [unrolled: 2-line block ×4, first 2 shown]
	v_mul_f64 v[54:55], v[76:77], v[22:23]
	v_fma_f64 v[4:5], v[68:69], v[28:29], v[4:5]
	buffer_store_dword v28, off, s[48:51], 0 offset:76 ; 4-byte Folded Spill
	s_nop 0
	buffer_store_dword v29, off, s[48:51], 0 offset:80 ; 4-byte Folded Spill
	buffer_store_dword v30, off, s[48:51], 0 offset:84 ; 4-byte Folded Spill
	;; [unrolled: 1-line block ×3, first 2 shown]
	v_fma_f64 v[8:9], v[72:73], v[114:115], v[8:9]
	buffer_store_dword v114, off, s[48:51], 0 offset:156 ; 4-byte Folded Spill
	s_nop 0
	buffer_store_dword v115, off, s[48:51], 0 offset:160 ; 4-byte Folded Spill
	buffer_store_dword v116, off, s[48:51], 0 offset:164 ; 4-byte Folded Spill
	;; [unrolled: 1-line block ×3, first 2 shown]
	s_waitcnt vmcnt(26)
	v_mul_f64 v[68:69], v[94:95], v[14:15]
	s_waitcnt vmcnt(24)
	v_mul_f64 v[72:73], v[98:99], v[26:27]
	v_fma_f64 v[52:53], v[76:77], v[20:21], v[52:53]
	buffer_store_dword v20, off, s[48:51], 0 offset:44 ; 4-byte Folded Spill
	s_nop 0
	buffer_store_dword v21, off, s[48:51], 0 offset:48 ; 4-byte Folded Spill
	buffer_store_dword v22, off, s[48:51], 0 offset:52 ; 4-byte Folded Spill
	buffer_store_dword v23, off, s[48:51], 0 offset:56 ; 4-byte Folded Spill
	v_mul_f64 v[58:59], v[80:81], v[43:44]
	v_fma_f64 v[56:57], v[80:81], v[41:42], v[56:57]
	buffer_store_dword v41, off, s[48:51], 0 offset:124 ; 4-byte Folded Spill
	s_nop 0
	buffer_store_dword v42, off, s[48:51], 0 offset:128 ; 4-byte Folded Spill
	buffer_store_dword v43, off, s[48:51], 0 offset:132 ; 4-byte Folded Spill
	buffer_store_dword v44, off, s[48:51], 0 offset:136 ; 4-byte Folded Spill
	;; [unrolled: 7-line block ×4, first 2 shown]
	v_fma_f64 v[68:69], v[92:93], v[12:13], v[68:69]
	v_fma_f64 v[72:73], v[96:97], v[24:25], v[72:73]
	v_fma_f64 v[6:7], v[70:71], v[28:29], -v[6:7]
	v_mul_f64 v[70:71], v[92:93], v[14:15]
	buffer_store_dword v12, off, s[48:51], 0 offset:12 ; 4-byte Folded Spill
	s_nop 0
	buffer_store_dword v13, off, s[48:51], 0 offset:16 ; 4-byte Folded Spill
	buffer_store_dword v14, off, s[48:51], 0 offset:20 ; 4-byte Folded Spill
	buffer_store_dword v15, off, s[48:51], 0 offset:24 ; 4-byte Folded Spill
	v_fma_f64 v[10:11], v[74:75], v[114:115], -v[10:11]
	v_mul_f64 v[74:75], v[96:97], v[26:27]
	buffer_store_dword v24, off, s[48:51], 0 offset:60 ; 4-byte Folded Spill
	s_nop 0
	buffer_store_dword v25, off, s[48:51], 0 offset:64 ; 4-byte Folded Spill
	buffer_store_dword v26, off, s[48:51], 0 offset:68 ; 4-byte Folded Spill
	;; [unrolled: 1-line block ×3, first 2 shown]
	v_fma_f64 v[54:55], v[78:79], v[20:21], -v[54:55]
	v_fma_f64 v[58:59], v[82:83], v[41:42], -v[58:59]
	;; [unrolled: 1-line block ×6, first 2 shown]
	ds_write_b128 v234, v[4:7] offset:1200
	ds_write_b128 v234, v[8:11] offset:1440
	;; [unrolled: 1-line block ×8, first 2 shown]
	v_or_b32_e32 v4, 28, v32
	buffer_store_dword v4, off, s[48:51], 0 offset:208 ; 4-byte Folded Spill
	v_or_b32_e32 v4, 58, v32
	buffer_store_dword v4, off, s[48:51], 0 offset:204 ; 4-byte Folded Spill
	s_and_saveexec_b64 s[2:3], vcc
	s_cbranch_execz .LBB0_3
; %bb.2:
	v_or_b32_e32 v7, 28, v32
	v_mad_u64_u32 v[4:5], s[0:1], s12, v7, 0
	v_mov_b32_e32 v6, 0xfffff590
	v_mad_u64_u32 v[0:1], s[0:1], s12, v6, v[0:1]
	v_mad_u64_u32 v[5:6], s[0:1], s13, v7, v[5:6]
	s_mul_i32 s14, s13, 0xfffff590
	s_sub_i32 s0, s14, s12
	v_lshlrev_b64 v[4:5], 4, v[4:5]
	v_add_u32_e32 v1, s0, v1
	v_add_co_u32_e64 v4, s[0:1], v2, v4
	v_or_b32_e32 v6, 58, v32
	v_addc_co_u32_e64 v5, s[0:1], v3, v5, s[0:1]
	v_mad_u64_u32 v[8:9], s[0:1], s12, v6, 0
	s_mul_i32 s14, s13, 0x1e0
	s_mul_hi_u32 s15, s12, 0x1e0
	s_add_i32 s14, s15, s14
	global_load_dwordx4 v[52:55], v[0:1], off
	global_load_dwordx4 v[56:59], v[4:5], off
	global_load_dwordx4 v[60:63], v[232:233], off offset:208
	global_load_dwordx4 v[64:67], v[232:233], off offset:448
	v_mov_b32_e32 v5, s14
	v_mov_b32_e32 v4, v9
	v_mad_u64_u32 v[9:10], s[0:1], s13, v6, v[4:5]
	s_mul_i32 s15, s12, 0x1e0
	v_add_co_u32_e64 v0, s[0:1], s15, v0
	v_lshlrev_b64 v[8:9], 4, v[8:9]
	v_addc_co_u32_e64 v1, s[0:1], v1, v5, s[0:1]
	v_add_co_u32_e64 v8, s[0:1], v2, v8
	v_or_b32_e32 v12, 0x58, v32
	v_addc_co_u32_e64 v9, s[0:1], v3, v9, s[0:1]
	v_mad_u64_u32 v[80:81], s[0:1], s12, v12, 0
	global_load_dwordx4 v[4:7], v[0:1], off
	v_mov_b32_e32 v13, s14
	v_mov_b32_e32 v76, v81
	v_mad_u64_u32 v[81:82], s[0:1], s13, v12, v[76:77]
	v_add_co_u32_e64 v0, s[0:1], s15, v0
	v_lshlrev_b64 v[80:81], 4, v[80:81]
	v_addc_co_u32_e64 v1, s[0:1], v1, v13, s[0:1]
	v_add_co_u32_e64 v80, s[0:1], v2, v80
	v_or_b32_e32 v12, 0x76, v32
	v_addc_co_u32_e64 v81, s[0:1], v3, v81, s[0:1]
	v_mad_u64_u32 v[96:97], s[0:1], s12, v12, 0
	global_load_dwordx4 v[8:11], v[8:9], off
	s_nop 0
	global_load_dwordx4 v[68:71], v[232:233], off offset:688
	global_load_dwordx4 v[72:75], v[232:233], off offset:928
	v_mov_b32_e32 v92, v97
	v_mad_u64_u32 v[97:98], s[0:1], s13, v12, v[92:93]
	global_load_dwordx4 v[76:79], v[0:1], off
	v_add_co_u32_e64 v0, s[0:1], s15, v0
	v_lshlrev_b64 v[96:97], 4, v[96:97]
	v_addc_co_u32_e64 v1, s[0:1], v1, v13, s[0:1]
	v_add_co_u32_e64 v96, s[0:1], v2, v96
	v_or_b32_e32 v12, 0x94, v32
	v_addc_co_u32_e64 v97, s[0:1], v3, v97, s[0:1]
	v_mad_u64_u32 v[112:113], s[0:1], s12, v12, 0
	global_load_dwordx4 v[80:83], v[80:81], off
	s_nop 0
	global_load_dwordx4 v[84:87], v[232:233], off offset:1168
	global_load_dwordx4 v[88:91], v[232:233], off offset:1408
	v_mov_b32_e32 v108, v113
	v_mad_u64_u32 v[113:114], s[0:1], s13, v12, v[108:109]
	global_load_dwordx4 v[92:95], v[0:1], off
	v_add_co_u32_e64 v0, s[0:1], s15, v0
	v_lshlrev_b64 v[112:113], 4, v[112:113]
	v_addc_co_u32_e64 v1, s[0:1], v1, v13, s[0:1]
	v_add_co_u32_e64 v112, s[0:1], v2, v112
	v_or_b32_e32 v12, 0xb2, v32
	v_addc_co_u32_e64 v113, s[0:1], v3, v113, s[0:1]
	v_mad_u64_u32 v[128:129], s[0:1], s12, v12, 0
	global_load_dwordx4 v[96:99], v[96:97], off
	s_nop 0
	global_load_dwordx4 v[100:103], v[232:233], off offset:1648
	global_load_dwordx4 v[104:107], v[232:233], off offset:1888
	v_mov_b32_e32 v124, v129
	v_mad_u64_u32 v[129:130], s[0:1], s13, v12, v[124:125]
	v_add_co_u32_e64 v136, s[0:1], s15, v0
	global_load_dwordx4 v[108:111], v[0:1], off
	v_addc_co_u32_e64 v137, s[0:1], v1, v13, s[0:1]
	v_lshlrev_b64 v[0:1], 4, v[128:129]
	global_load_dwordx4 v[112:115], v[112:113], off
	v_add_co_u32_e64 v0, s[0:1], v2, v0
	global_load_dwordx4 v[116:119], v[232:233], off offset:2128
	global_load_dwordx4 v[120:123], v[232:233], off offset:2368
	v_addc_co_u32_e64 v1, s[0:1], v3, v1, s[0:1]
	global_load_dwordx4 v[124:127], v[136:137], off
	v_mov_b32_e32 v12, s14
	v_add_co_u32_e64 v136, s[0:1], s15, v136
	global_load_dwordx4 v[0:3], v[0:1], off
	s_nop 0
	global_load_dwordx4 v[128:131], v[232:233], off offset:2608
	global_load_dwordx4 v[132:135], v[232:233], off offset:2848
	v_addc_co_u32_e64 v137, s[0:1], v137, v12, s[0:1]
	global_load_dwordx4 v[136:139], v[136:137], off
	s_nop 0
	global_load_dwordx4 v[140:143], v[232:233], off offset:3088
	s_waitcnt vmcnt(23)
	v_mul_f64 v[144:145], v[54:55], v[62:63]
	v_mul_f64 v[62:63], v[52:53], v[62:63]
	v_fma_f64 v[52:53], v[52:53], v[60:61], v[144:145]
	v_fma_f64 v[54:55], v[54:55], v[60:61], -v[62:63]
	s_waitcnt vmcnt(22)
	v_mul_f64 v[60:61], v[58:59], v[66:67]
	v_mul_f64 v[62:63], v[56:57], v[66:67]
	v_fma_f64 v[56:57], v[56:57], v[64:65], v[60:61]
	s_waitcnt vmcnt(19)
	v_mul_f64 v[66:67], v[6:7], v[70:71]
	v_mul_f64 v[70:71], v[4:5], v[70:71]
	s_waitcnt vmcnt(18)
	v_mul_f64 v[144:145], v[10:11], v[74:75]
	v_mul_f64 v[74:75], v[8:9], v[74:75]
	v_fma_f64 v[58:59], v[58:59], v[64:65], -v[62:63]
	v_fma_f64 v[4:5], v[4:5], v[68:69], v[66:67]
	v_fma_f64 v[6:7], v[6:7], v[68:69], -v[70:71]
	v_fma_f64 v[8:9], v[8:9], v[72:73], v[144:145]
	v_fma_f64 v[10:11], v[10:11], v[72:73], -v[74:75]
	s_waitcnt vmcnt(15)
	v_mul_f64 v[146:147], v[78:79], v[86:87]
	v_mul_f64 v[86:87], v[76:77], v[86:87]
	v_fma_f64 v[60:61], v[76:77], v[84:85], v[146:147]
	v_fma_f64 v[62:63], v[78:79], v[84:85], -v[86:87]
	ds_write_b128 v234, v[52:55] offset:208
	ds_write_b128 v234, v[56:59] offset:448
	;; [unrolled: 1-line block ×5, first 2 shown]
	s_waitcnt vmcnt(14)
	v_mul_f64 v[4:5], v[82:83], v[90:91]
	v_mul_f64 v[6:7], v[80:81], v[90:91]
	s_waitcnt vmcnt(11)
	v_mul_f64 v[8:9], v[94:95], v[102:103]
	v_mul_f64 v[10:11], v[92:93], v[102:103]
	;; [unrolled: 3-line block ×3, first 2 shown]
	v_fma_f64 v[4:5], v[80:81], v[88:89], v[4:5]
	v_fma_f64 v[6:7], v[82:83], v[88:89], -v[6:7]
	v_fma_f64 v[8:9], v[92:93], v[100:101], v[8:9]
	v_fma_f64 v[10:11], v[94:95], v[100:101], -v[10:11]
	v_fma_f64 v[52:53], v[96:97], v[104:105], v[52:53]
	v_fma_f64 v[54:55], v[98:99], v[104:105], -v[54:55]
	s_waitcnt vmcnt(7)
	v_mul_f64 v[56:57], v[110:111], v[118:119]
	v_mul_f64 v[58:59], v[108:109], v[118:119]
	s_waitcnt vmcnt(6)
	v_mul_f64 v[60:61], v[114:115], v[122:123]
	v_mul_f64 v[62:63], v[112:113], v[122:123]
	;; [unrolled: 3-line block ×5, first 2 shown]
	v_fma_f64 v[56:57], v[108:109], v[116:117], v[56:57]
	v_fma_f64 v[58:59], v[110:111], v[116:117], -v[58:59]
	v_fma_f64 v[60:61], v[112:113], v[120:121], v[60:61]
	v_fma_f64 v[62:63], v[114:115], v[120:121], -v[62:63]
	;; [unrolled: 2-line block ×5, first 2 shown]
	ds_write_b128 v234, v[4:7] offset:1408
	ds_write_b128 v234, v[8:11] offset:1648
	;; [unrolled: 1-line block ×8, first 2 shown]
.LBB0_3:
	s_or_b64 exec, exec, s[2:3]
	s_waitcnt lgkmcnt(0)
	; wave barrier
	s_waitcnt lgkmcnt(0)
	ds_read_b128 v[92:95], v234
	ds_read_b128 v[152:155], v234 offset:240
	ds_read_b128 v[84:87], v234 offset:480
	;; [unrolled: 1-line block ×12, first 2 shown]
	s_load_dwordx2 s[2:3], s[4:5], 0x8
                                        ; implicit-def: $vgpr96_vgpr97
                                        ; implicit-def: $vgpr100_vgpr101
                                        ; implicit-def: $vgpr104_vgpr105
                                        ; implicit-def: $vgpr108_vgpr109
                                        ; implicit-def: $vgpr112_vgpr113
                                        ; implicit-def: $vgpr120_vgpr121
                                        ; implicit-def: $vgpr124_vgpr125
                                        ; implicit-def: $vgpr128_vgpr129
                                        ; implicit-def: $vgpr132_vgpr133
                                        ; implicit-def: $vgpr136_vgpr137
                                        ; implicit-def: $vgpr140_vgpr141
                                        ; implicit-def: $vgpr144_vgpr145
                                        ; implicit-def: $vgpr116_vgpr117
	s_and_saveexec_b64 s[0:1], vcc
	s_cbranch_execz .LBB0_5
; %bb.4:
	ds_read_b128 v[96:99], v234 offset:208
	ds_read_b128 v[100:103], v234 offset:448
	;; [unrolled: 1-line block ×13, first 2 shown]
.LBB0_5:
	s_or_b64 exec, exec, s[0:1]
	s_waitcnt lgkmcnt(0)
	v_add_f64 v[2:3], v[94:95], v[154:155]
	v_add_f64 v[0:1], v[92:93], v[152:153]
	v_add_f64 v[174:175], v[154:155], -v[158:159]
	s_mov_b32 s42, 0x4267c47c
	s_mov_b32 s43, 0xbfddbe06
	v_add_f64 v[10:11], v[152:153], v[156:157]
	v_add_f64 v[172:173], v[152:153], -v[156:157]
	v_add_co_u32_e64 v33, s[0:1], 13, v32
	v_add_f64 v[2:3], v[2:3], v[86:87]
	v_add_f64 v[0:1], v[0:1], v[84:85]
	s_mov_b32 s0, 0xe00740e9
	s_mov_b32 s1, 0x3fec55a7
	v_add_f64 v[170:171], v[154:155], v[158:159]
	v_mul_f64 v[4:5], v[172:173], s[42:43]
	s_mov_b32 s26, 0x42a4c3d2
	s_mov_b32 s27, 0xbfea55e2
	v_add_f64 v[2:3], v[2:3], v[78:79]
	v_add_f64 v[0:1], v[0:1], v[76:77]
	s_mov_b32 s4, 0x1ea71119
	s_mov_b32 s5, 0x3fe22d96
	;; [unrolled: 1-line block ×6, first 2 shown]
	v_add_f64 v[2:3], v[2:3], v[70:71]
	v_add_f64 v[0:1], v[0:1], v[68:69]
	s_mov_b32 s22, 0x2ef20147
	s_mov_b32 s24, 0x24c2f84
	;; [unrolled: 1-line block ×6, first 2 shown]
	v_add_f64 v[2:3], v[2:3], v[62:63]
	v_add_f64 v[0:1], v[0:1], v[60:61]
	v_mul_f64 v[182:183], v[174:175], s[24:25]
	s_mov_b32 s14, 0xb2365da1
	s_mov_b32 s18, 0xd0032e0c
	;; [unrolled: 1-line block ×5, first 2 shown]
	v_add_f64 v[2:3], v[2:3], v[54:55]
	v_add_f64 v[0:1], v[0:1], v[52:53]
	s_mov_b32 s21, 0xbfef11f4
	v_mul_f64 v[160:161], v[172:173], s[22:23]
	v_fma_f64 v[184:185], v[10:11], s[18:19], -v[182:183]
	v_mul_f64 v[186:187], v[172:173], s[24:25]
	v_fma_f64 v[182:183], v[10:11], s[18:19], v[182:183]
	s_mov_b32 s39, 0x3fe5384d
	v_add_f64 v[2:3], v[2:3], v[58:59]
	v_add_f64 v[0:1], v[0:1], v[56:57]
	s_mov_b32 s38, s24
	s_mov_b32 s31, 0x3fefc445
	v_add_f64 v[184:185], v[92:93], v[184:185]
	v_fma_f64 v[188:189], v[170:171], s[18:19], v[186:187]
	v_add_f64 v[182:183], v[92:93], v[182:183]
	v_fma_f64 v[186:187], v[170:171], s[18:19], -v[186:187]
	v_add_f64 v[2:3], v[2:3], v[66:67]
	v_add_f64 v[0:1], v[0:1], v[64:65]
	s_mov_b32 s30, s34
	s_mov_b32 s37, 0x3fddbe06
	;; [unrolled: 1-line block ×3, first 2 shown]
	v_add_f64 v[188:189], v[94:95], v[188:189]
	s_mov_b32 s47, 0x3fedeba7
	v_add_f64 v[186:187], v[94:95], v[186:187]
	v_add_f64 v[2:3], v[2:3], v[74:75]
	v_add_f64 v[0:1], v[0:1], v[72:73]
	s_mov_b32 s46, s22
	s_mov_b32 s45, 0x3fcea1e5
	;; [unrolled: 1-line block ×5, first 2 shown]
	v_add_f64 v[200:201], v[100:101], v[116:117]
	v_add_f64 v[2:3], v[2:3], v[82:83]
	;; [unrolled: 1-line block ×14, first 2 shown]
	v_add_f64 v[30:31], v[124:125], -v[128:129]
	s_waitcnt lgkmcnt(0)
	; wave barrier
	v_add_f64 v[150:151], v[2:3], v[158:159]
	v_mul_f64 v[2:3], v[174:175], s[42:43]
	v_add_f64 v[148:149], v[0:1], v[156:157]
	v_fma_f64 v[0:1], v[10:11], s[0:1], -v[2:3]
	v_fma_f64 v[2:3], v[10:11], s[0:1], v[2:3]
	v_add_f64 v[176:177], v[92:93], v[0:1]
	v_fma_f64 v[0:1], v[170:171], s[0:1], v[4:5]
	v_fma_f64 v[4:5], v[170:171], s[0:1], -v[4:5]
	v_add_f64 v[2:3], v[92:93], v[2:3]
	v_add_f64 v[0:1], v[94:95], v[0:1]
	;; [unrolled: 1-line block ×3, first 2 shown]
	v_mul_f64 v[4:5], v[174:175], s[26:27]
	v_fma_f64 v[6:7], v[10:11], s[4:5], -v[4:5]
	v_fma_f64 v[4:5], v[10:11], s[4:5], v[4:5]
	v_add_f64 v[178:179], v[92:93], v[6:7]
	v_mul_f64 v[6:7], v[172:173], s[26:27]
	v_add_f64 v[166:167], v[92:93], v[4:5]
	v_fma_f64 v[4:5], v[170:171], s[4:5], -v[6:7]
	v_fma_f64 v[152:153], v[170:171], s[4:5], v[6:7]
	v_add_f64 v[168:169], v[94:95], v[4:5]
	v_mul_f64 v[4:5], v[174:175], s[34:35]
	v_add_f64 v[164:165], v[94:95], v[152:153]
	;; [unrolled: 5-line block ×3, first 2 shown]
	v_mul_f64 v[172:173], v[172:173], s[28:29]
	v_fma_f64 v[152:153], v[170:171], s[12:13], v[6:7]
	v_fma_f64 v[4:5], v[170:171], s[12:13], -v[6:7]
	v_mul_f64 v[6:7], v[174:175], s[22:23]
	v_mul_f64 v[174:175], v[174:175], s[28:29]
	v_fma_f64 v[192:193], v[170:171], s[20:21], v[172:173]
	v_add_f64 v[152:153], v[94:95], v[152:153]
	v_add_f64 v[156:157], v[94:95], v[4:5]
	v_fma_f64 v[4:5], v[10:11], s[14:15], -v[6:7]
	v_fma_f64 v[6:7], v[10:11], s[14:15], v[6:7]
	v_fma_f64 v[190:191], v[10:11], s[20:21], -v[174:175]
	v_fma_f64 v[10:11], v[10:11], s[20:21], v[174:175]
	v_add_f64 v[192:193], v[94:95], v[192:193]
	v_add_f64 v[162:163], v[92:93], v[4:5]
	v_fma_f64 v[4:5], v[170:171], s[14:15], v[160:161]
	v_add_f64 v[6:7], v[92:93], v[6:7]
	v_fma_f64 v[160:161], v[170:171], s[14:15], -v[160:161]
	v_add_f64 v[190:191], v[92:93], v[190:191]
	v_add_f64 v[10:11], v[92:93], v[10:11]
	v_fma_f64 v[92:93], v[170:171], s[20:21], -v[172:173]
	v_add_f64 v[170:171], v[86:87], v[90:91]
	v_add_f64 v[86:87], v[86:87], -v[90:91]
	v_add_f64 v[4:5], v[94:95], v[4:5]
	v_add_f64 v[160:161], v[94:95], v[160:161]
	;; [unrolled: 1-line block ×4, first 2 shown]
	v_add_f64 v[84:85], v[84:85], -v[88:89]
	v_mul_f64 v[88:89], v[86:87], s[26:27]
	v_mul_f64 v[172:173], v[84:85], s[26:27]
	v_fma_f64 v[90:91], v[94:95], s[4:5], -v[88:89]
	v_fma_f64 v[88:89], v[94:95], s[4:5], v[88:89]
	v_fma_f64 v[174:175], v[170:171], s[4:5], v[172:173]
	v_add_f64 v[90:91], v[90:91], v[176:177]
	v_add_f64 v[2:3], v[88:89], v[2:3]
	v_fma_f64 v[88:89], v[170:171], s[4:5], -v[172:173]
	v_add_f64 v[0:1], v[174:175], v[0:1]
	v_mul_f64 v[174:175], v[84:85], s[22:23]
	v_add_f64 v[88:89], v[88:89], v[158:159]
	v_mul_f64 v[158:159], v[86:87], s[22:23]
	v_fma_f64 v[176:177], v[170:171], s[14:15], v[174:175]
	v_fma_f64 v[172:173], v[94:95], s[14:15], -v[158:159]
	v_fma_f64 v[158:159], v[94:95], s[14:15], v[158:159]
	v_add_f64 v[164:165], v[176:177], v[164:165]
	v_mul_f64 v[176:177], v[84:85], s[28:29]
	v_add_f64 v[172:173], v[172:173], v[178:179]
	v_add_f64 v[158:159], v[158:159], v[166:167]
	v_fma_f64 v[166:167], v[170:171], s[14:15], -v[174:175]
	v_fma_f64 v[178:179], v[170:171], s[20:21], v[176:177]
	v_add_f64 v[166:167], v[166:167], v[168:169]
	v_mul_f64 v[168:169], v[86:87], s[28:29]
	v_add_f64 v[152:153], v[178:179], v[152:153]
	v_fma_f64 v[174:175], v[94:95], s[20:21], -v[168:169]
	v_fma_f64 v[168:169], v[94:95], s[20:21], v[168:169]
	v_add_f64 v[174:175], v[174:175], v[180:181]
	v_add_f64 v[154:155], v[168:169], v[154:155]
	v_fma_f64 v[168:169], v[170:171], s[20:21], -v[176:177]
	v_add_f64 v[156:157], v[168:169], v[156:157]
	v_mul_f64 v[168:169], v[86:87], s[38:39]
	v_fma_f64 v[176:177], v[94:95], s[18:19], -v[168:169]
	v_fma_f64 v[168:169], v[94:95], s[18:19], v[168:169]
	v_add_f64 v[162:163], v[176:177], v[162:163]
	v_mul_f64 v[176:177], v[84:85], s[38:39]
	v_add_f64 v[6:7], v[168:169], v[6:7]
	v_fma_f64 v[168:169], v[170:171], s[18:19], -v[176:177]
	v_fma_f64 v[178:179], v[170:171], s[18:19], v[176:177]
	v_add_f64 v[160:161], v[168:169], v[160:161]
	v_mul_f64 v[168:169], v[86:87], s[30:31]
	v_add_f64 v[4:5], v[178:179], v[4:5]
	v_mul_f64 v[178:179], v[84:85], s[30:31]
	v_mul_f64 v[84:85], v[84:85], s[36:37]
	;; [unrolled: 1-line block ×3, first 2 shown]
	v_fma_f64 v[176:177], v[94:95], s[12:13], -v[168:169]
	v_fma_f64 v[168:169], v[94:95], s[12:13], v[168:169]
	v_fma_f64 v[180:181], v[170:171], s[12:13], v[178:179]
	v_fma_f64 v[178:179], v[170:171], s[12:13], -v[178:179]
	v_add_f64 v[176:177], v[176:177], v[184:185]
	v_fma_f64 v[184:185], v[170:171], s[0:1], v[84:85]
	v_fma_f64 v[84:85], v[170:171], s[0:1], -v[84:85]
	v_add_f64 v[168:169], v[168:169], v[182:183]
	v_fma_f64 v[182:183], v[94:95], s[0:1], -v[86:87]
	v_fma_f64 v[86:87], v[94:95], s[0:1], v[86:87]
	v_add_f64 v[178:179], v[178:179], v[186:187]
	v_add_f64 v[180:181], v[180:181], v[188:189]
	v_add_f64 v[184:185], v[184:185], v[192:193]
	v_add_f64 v[84:85], v[84:85], v[92:93]
	v_add_f64 v[92:93], v[78:79], v[82:83]
	v_add_f64 v[78:79], v[78:79], -v[82:83]
	v_add_f64 v[10:11], v[86:87], v[10:11]
	v_add_f64 v[86:87], v[76:77], v[80:81]
	v_add_f64 v[76:77], v[76:77], -v[80:81]
	v_add_f64 v[182:183], v[182:183], v[190:191]
	v_mul_f64 v[80:81], v[78:79], s[34:35]
	v_fma_f64 v[82:83], v[86:87], s[12:13], -v[80:81]
	v_fma_f64 v[80:81], v[86:87], s[12:13], v[80:81]
	v_add_f64 v[82:83], v[82:83], v[90:91]
	v_mul_f64 v[90:91], v[76:77], s[34:35]
	v_add_f64 v[2:3], v[80:81], v[2:3]
	v_fma_f64 v[80:81], v[92:93], s[12:13], -v[90:91]
	v_fma_f64 v[94:95], v[92:93], s[12:13], v[90:91]
	v_add_f64 v[80:81], v[80:81], v[88:89]
	v_mul_f64 v[88:89], v[78:79], s[28:29]
	v_add_f64 v[0:1], v[94:95], v[0:1]
	v_mul_f64 v[94:95], v[76:77], s[28:29]
	v_fma_f64 v[90:91], v[86:87], s[20:21], -v[88:89]
	v_fma_f64 v[88:89], v[86:87], s[20:21], v[88:89]
	v_fma_f64 v[170:171], v[92:93], s[20:21], v[94:95]
	v_fma_f64 v[94:95], v[92:93], s[20:21], -v[94:95]
	v_add_f64 v[90:91], v[90:91], v[172:173]
	v_add_f64 v[88:89], v[88:89], v[158:159]
	v_mul_f64 v[158:159], v[78:79], s[46:47]
	v_add_f64 v[164:165], v[170:171], v[164:165]
	v_add_f64 v[94:95], v[94:95], v[166:167]
	v_mul_f64 v[170:171], v[76:77], s[46:47]
	v_fma_f64 v[166:167], v[86:87], s[14:15], -v[158:159]
	v_fma_f64 v[158:159], v[86:87], s[14:15], v[158:159]
	v_fma_f64 v[172:173], v[92:93], s[14:15], v[170:171]
	v_add_f64 v[166:167], v[166:167], v[174:175]
	v_add_f64 v[154:155], v[158:159], v[154:155]
	v_fma_f64 v[158:159], v[92:93], s[14:15], -v[170:171]
	v_add_f64 v[152:153], v[172:173], v[152:153]
	v_add_f64 v[156:157], v[158:159], v[156:157]
	v_mul_f64 v[158:159], v[78:79], s[36:37]
	v_fma_f64 v[170:171], v[86:87], s[0:1], -v[158:159]
	v_fma_f64 v[158:159], v[86:87], s[0:1], v[158:159]
	v_add_f64 v[162:163], v[170:171], v[162:163]
	v_mul_f64 v[170:171], v[76:77], s[36:37]
	v_add_f64 v[6:7], v[158:159], v[6:7]
	v_fma_f64 v[158:159], v[92:93], s[0:1], -v[170:171]
	v_fma_f64 v[172:173], v[92:93], s[0:1], v[170:171]
	v_add_f64 v[158:159], v[158:159], v[160:161]
	v_mul_f64 v[160:161], v[78:79], s[26:27]
	v_add_f64 v[4:5], v[172:173], v[4:5]
	v_mul_f64 v[172:173], v[76:77], s[26:27]
	v_mul_f64 v[76:77], v[76:77], s[24:25]
	;; [unrolled: 1-line block ×3, first 2 shown]
	v_fma_f64 v[170:171], v[86:87], s[4:5], -v[160:161]
	v_fma_f64 v[160:161], v[86:87], s[4:5], v[160:161]
	v_fma_f64 v[174:175], v[92:93], s[4:5], v[172:173]
	v_add_f64 v[170:171], v[170:171], v[176:177]
	v_fma_f64 v[176:177], v[92:93], s[18:19], v[76:77]
	v_fma_f64 v[76:77], v[92:93], s[18:19], -v[76:77]
	v_add_f64 v[160:161], v[160:161], v[168:169]
	v_fma_f64 v[168:169], v[92:93], s[4:5], -v[172:173]
	v_fma_f64 v[172:173], v[86:87], s[18:19], -v[78:79]
	v_fma_f64 v[78:79], v[86:87], s[18:19], v[78:79]
	v_add_f64 v[174:175], v[174:175], v[180:181]
	v_add_f64 v[176:177], v[176:177], v[184:185]
	;; [unrolled: 1-line block ×4, first 2 shown]
	v_add_f64 v[70:71], v[70:71], -v[74:75]
	v_add_f64 v[168:169], v[168:169], v[178:179]
	v_add_f64 v[10:11], v[78:79], v[10:11]
	;; [unrolled: 1-line block ×3, first 2 shown]
	v_add_f64 v[68:69], v[68:69], -v[72:73]
	v_add_f64 v[172:173], v[172:173], v[182:183]
	v_mul_f64 v[72:73], v[70:71], s[22:23]
	v_fma_f64 v[74:75], v[78:79], s[14:15], -v[72:73]
	v_fma_f64 v[72:73], v[78:79], s[14:15], v[72:73]
	v_add_f64 v[74:75], v[74:75], v[82:83]
	v_mul_f64 v[82:83], v[68:69], s[22:23]
	v_add_f64 v[2:3], v[72:73], v[2:3]
	v_fma_f64 v[72:73], v[84:85], s[14:15], -v[82:83]
	v_fma_f64 v[86:87], v[84:85], s[14:15], v[82:83]
	v_add_f64 v[72:73], v[72:73], v[80:81]
	v_mul_f64 v[80:81], v[70:71], s[38:39]
	v_add_f64 v[0:1], v[86:87], v[0:1]
	v_mul_f64 v[86:87], v[68:69], s[38:39]
	v_fma_f64 v[82:83], v[78:79], s[18:19], -v[80:81]
	v_fma_f64 v[80:81], v[78:79], s[18:19], v[80:81]
	v_add_f64 v[82:83], v[82:83], v[90:91]
	v_fma_f64 v[90:91], v[84:85], s[18:19], v[86:87]
	v_add_f64 v[80:81], v[80:81], v[88:89]
	v_fma_f64 v[86:87], v[84:85], s[18:19], -v[86:87]
	v_mul_f64 v[88:89], v[70:71], s[36:37]
	v_add_f64 v[90:91], v[90:91], v[164:165]
	v_add_f64 v[86:87], v[86:87], v[94:95]
	v_fma_f64 v[92:93], v[78:79], s[0:1], -v[88:89]
	v_mul_f64 v[94:95], v[68:69], s[36:37]
	v_fma_f64 v[88:89], v[78:79], s[0:1], v[88:89]
	v_add_f64 v[92:93], v[92:93], v[166:167]
	v_fma_f64 v[164:165], v[84:85], s[0:1], v[94:95]
	v_add_f64 v[88:89], v[88:89], v[154:155]
	v_fma_f64 v[94:95], v[84:85], s[0:1], -v[94:95]
	v_mul_f64 v[154:155], v[70:71], s[34:35]
	v_add_f64 v[152:153], v[164:165], v[152:153]
	v_add_f64 v[94:95], v[94:95], v[156:157]
	v_fma_f64 v[156:157], v[78:79], s[12:13], -v[154:155]
	v_fma_f64 v[154:155], v[78:79], s[12:13], v[154:155]
	v_add_f64 v[156:157], v[156:157], v[162:163]
	v_mul_f64 v[162:163], v[68:69], s[34:35]
	v_add_f64 v[6:7], v[154:155], v[6:7]
	v_fma_f64 v[154:155], v[84:85], s[12:13], -v[162:163]
	v_fma_f64 v[164:165], v[84:85], s[12:13], v[162:163]
	v_add_f64 v[154:155], v[154:155], v[158:159]
	v_mul_f64 v[158:159], v[70:71], s[44:45]
	v_add_f64 v[4:5], v[164:165], v[4:5]
	v_mul_f64 v[164:165], v[68:69], s[44:45]
	v_mul_f64 v[68:69], v[68:69], s[40:41]
	;; [unrolled: 1-line block ×3, first 2 shown]
	v_fma_f64 v[162:163], v[78:79], s[20:21], -v[158:159]
	v_fma_f64 v[158:159], v[78:79], s[20:21], v[158:159]
	v_fma_f64 v[166:167], v[84:85], s[20:21], v[164:165]
	v_add_f64 v[162:163], v[162:163], v[170:171]
	v_add_f64 v[158:159], v[158:159], v[160:161]
	v_fma_f64 v[160:161], v[84:85], s[20:21], -v[164:165]
	v_fma_f64 v[164:165], v[78:79], s[4:5], -v[70:71]
	v_fma_f64 v[70:71], v[78:79], s[4:5], v[70:71]
	v_add_f64 v[166:167], v[166:167], v[174:175]
	v_add_f64 v[160:161], v[160:161], v[168:169]
	v_fma_f64 v[168:169], v[84:85], s[4:5], v[68:69]
	v_fma_f64 v[68:69], v[84:85], s[4:5], -v[68:69]
	v_add_f64 v[10:11], v[70:71], v[10:11]
	v_add_f64 v[70:71], v[60:61], v[64:65]
	v_add_f64 v[60:61], v[60:61], -v[64:65]
	v_add_f64 v[164:165], v[164:165], v[172:173]
	v_add_f64 v[168:169], v[168:169], v[176:177]
	;; [unrolled: 1-line block ×4, first 2 shown]
	v_add_f64 v[62:63], v[62:63], -v[66:67]
	v_mul_f64 v[64:65], v[62:63], s[24:25]
	v_fma_f64 v[66:67], v[70:71], s[18:19], -v[64:65]
	v_fma_f64 v[64:65], v[70:71], s[18:19], v[64:65]
	v_add_f64 v[66:67], v[66:67], v[74:75]
	v_mul_f64 v[74:75], v[60:61], s[24:25]
	v_add_f64 v[2:3], v[64:65], v[2:3]
	v_fma_f64 v[64:65], v[76:77], s[18:19], -v[74:75]
	v_fma_f64 v[78:79], v[76:77], s[18:19], v[74:75]
	v_add_f64 v[64:65], v[64:65], v[72:73]
	v_mul_f64 v[72:73], v[62:63], s[30:31]
	v_add_f64 v[0:1], v[78:79], v[0:1]
	v_mul_f64 v[78:79], v[60:61], s[30:31]
	v_fma_f64 v[74:75], v[70:71], s[12:13], -v[72:73]
	v_fma_f64 v[72:73], v[70:71], s[12:13], v[72:73]
	v_add_f64 v[74:75], v[74:75], v[82:83]
	v_fma_f64 v[82:83], v[76:77], s[12:13], v[78:79]
	v_add_f64 v[72:73], v[72:73], v[80:81]
	v_fma_f64 v[78:79], v[76:77], s[12:13], -v[78:79]
	v_mul_f64 v[80:81], v[62:63], s[26:27]
	v_add_f64 v[82:83], v[82:83], v[90:91]
	v_add_f64 v[78:79], v[78:79], v[86:87]
	v_fma_f64 v[84:85], v[70:71], s[4:5], -v[80:81]
	v_mul_f64 v[86:87], v[60:61], s[26:27]
	v_fma_f64 v[80:81], v[70:71], s[4:5], v[80:81]
	v_add_f64 v[84:85], v[84:85], v[92:93]
	v_fma_f64 v[90:91], v[76:77], s[4:5], v[86:87]
	v_add_f64 v[80:81], v[80:81], v[88:89]
	v_fma_f64 v[86:87], v[76:77], s[4:5], -v[86:87]
	v_mul_f64 v[88:89], v[62:63], s[44:45]
	v_add_f64 v[90:91], v[90:91], v[152:153]
	v_add_f64 v[86:87], v[86:87], v[94:95]
	v_fma_f64 v[92:93], v[70:71], s[20:21], -v[88:89]
	v_mul_f64 v[94:95], v[60:61], s[44:45]
	v_fma_f64 v[88:89], v[70:71], s[20:21], v[88:89]
	v_add_f64 v[92:93], v[92:93], v[156:157]
	v_fma_f64 v[152:153], v[76:77], s[20:21], v[94:95]
	v_add_f64 v[6:7], v[88:89], v[6:7]
	v_fma_f64 v[88:89], v[76:77], s[20:21], -v[94:95]
	v_mul_f64 v[94:95], v[62:63], s[36:37]
	v_mul_f64 v[62:63], v[62:63], s[22:23]
	v_add_f64 v[4:5], v[152:153], v[4:5]
	v_add_f64 v[88:89], v[88:89], v[154:155]
	v_fma_f64 v[152:153], v[70:71], s[0:1], -v[94:95]
	v_fma_f64 v[94:95], v[70:71], s[0:1], v[94:95]
	v_add_f64 v[184:185], v[152:153], v[162:163]
	v_mul_f64 v[152:153], v[60:61], s[36:37]
	v_mul_f64 v[60:61], v[60:61], s[22:23]
	v_add_f64 v[94:95], v[94:95], v[158:159]
	v_fma_f64 v[154:155], v[76:77], s[0:1], v[152:153]
	v_fma_f64 v[152:153], v[76:77], s[0:1], -v[152:153]
	v_add_f64 v[186:187], v[154:155], v[166:167]
	v_add_f64 v[190:191], v[152:153], v[160:161]
	v_fma_f64 v[152:153], v[70:71], s[14:15], -v[62:63]
	v_fma_f64 v[62:63], v[70:71], s[14:15], v[62:63]
	v_add_f64 v[192:193], v[152:153], v[164:165]
	v_fma_f64 v[152:153], v[76:77], s[14:15], v[60:61]
	v_fma_f64 v[60:61], v[76:77], s[14:15], -v[60:61]
	v_add_f64 v[10:11], v[62:63], v[10:11]
	v_add_f64 v[62:63], v[52:53], v[56:57]
	v_add_f64 v[52:53], v[52:53], -v[56:57]
	v_add_f64 v[194:195], v[152:153], v[168:169]
	v_add_f64 v[60:61], v[60:61], v[68:69]
	;; [unrolled: 1-line block ×3, first 2 shown]
	v_add_f64 v[54:55], v[54:55], -v[58:59]
	v_mul_f64 v[56:57], v[54:55], s[28:29]
	v_fma_f64 v[58:59], v[62:63], s[20:21], -v[56:57]
	v_add_f64 v[156:157], v[58:59], v[66:67]
	v_mul_f64 v[58:59], v[52:53], s[28:29]
	v_fma_f64 v[66:67], v[68:69], s[20:21], v[58:59]
	v_add_f64 v[158:159], v[66:67], v[0:1]
	v_fma_f64 v[0:1], v[62:63], s[20:21], v[56:57]
	v_add_f64 v[152:153], v[0:1], v[2:3]
	v_fma_f64 v[0:1], v[68:69], s[20:21], -v[58:59]
	v_add_f64 v[154:155], v[0:1], v[64:65]
	v_mul_f64 v[0:1], v[54:55], s[36:37]
	v_fma_f64 v[2:3], v[62:63], s[0:1], -v[0:1]
	v_fma_f64 v[0:1], v[62:63], s[0:1], v[0:1]
	v_add_f64 v[164:165], v[2:3], v[74:75]
	v_mul_f64 v[2:3], v[52:53], s[36:37]
	v_add_f64 v[160:161], v[0:1], v[72:73]
	v_fma_f64 v[0:1], v[68:69], s[0:1], -v[2:3]
	v_fma_f64 v[56:57], v[68:69], s[0:1], v[2:3]
	v_add_f64 v[162:163], v[0:1], v[78:79]
	v_mul_f64 v[0:1], v[54:55], s[24:25]
	v_add_f64 v[166:167], v[56:57], v[82:83]
	;; [unrolled: 5-line block ×4, first 2 shown]
	v_add_f64 v[86:87], v[104:105], -v[144:145]
	v_fma_f64 v[2:3], v[62:63], s[4:5], -v[0:1]
	v_fma_f64 v[0:1], v[62:63], s[4:5], v[0:1]
	v_mul_f64 v[214:215], v[86:87], s[26:27]
	v_add_f64 v[176:177], v[2:3], v[92:93]
	v_mul_f64 v[2:3], v[52:53], s[40:41]
	v_add_f64 v[180:181], v[0:1], v[6:7]
	v_fma_f64 v[0:1], v[68:69], s[4:5], -v[2:3]
	v_fma_f64 v[56:57], v[68:69], s[4:5], v[2:3]
	v_add_f64 v[182:183], v[0:1], v[88:89]
	v_mul_f64 v[0:1], v[54:55], s[22:23]
	v_add_f64 v[178:179], v[56:57], v[4:5]
	v_add_f64 v[88:89], v[106:107], -v[146:147]
	v_fma_f64 v[2:3], v[62:63], s[14:15], -v[0:1]
	v_fma_f64 v[0:1], v[62:63], s[14:15], v[0:1]
	v_mul_f64 v[212:213], v[88:89], s[26:27]
	v_add_f64 v[184:185], v[2:3], v[184:185]
	v_mul_f64 v[2:3], v[52:53], s[22:23]
	v_add_f64 v[188:189], v[0:1], v[94:95]
	v_fma_f64 v[90:91], v[208:209], s[4:5], v[212:213]
	v_fma_f64 v[0:1], v[68:69], s[14:15], -v[2:3]
	v_fma_f64 v[4:5], v[68:69], s[14:15], v[2:3]
	v_add_f64 v[190:191], v[0:1], v[190:191]
	v_mul_f64 v[0:1], v[54:55], s[30:31]
	v_add_f64 v[186:187], v[4:5], v[186:187]
	v_fma_f64 v[2:3], v[62:63], s[12:13], -v[0:1]
	v_fma_f64 v[0:1], v[62:63], s[12:13], v[0:1]
	v_add_f64 v[192:193], v[2:3], v[192:193]
	v_mul_f64 v[2:3], v[52:53], s[30:31]
	v_add_f64 v[196:197], v[0:1], v[10:11]
	v_fma_f64 v[4:5], v[68:69], s[12:13], v[2:3]
	v_fma_f64 v[0:1], v[68:69], s[12:13], -v[2:3]
	v_add_f64 v[2:3], v[102:103], -v[118:119]
	v_add_f64 v[194:195], v[4:5], v[194:195]
	v_add_f64 v[198:199], v[0:1], v[60:61]
	v_add_f64 v[0:1], v[100:101], -v[116:117]
	v_mul_f64 v[204:205], v[2:3], s[42:43]
	v_mul_f64 v[10:11], v[2:3], s[26:27]
	v_mul_f64 v[58:59], v[2:3], s[34:35]
	v_mul_f64 v[66:67], v[2:3], s[22:23]
	v_mul_f64 v[74:75], v[2:3], s[24:25]
	v_mul_f64 v[2:3], v[2:3], s[28:29]
	v_mul_f64 v[206:207], v[0:1], s[42:43]
	v_fma_f64 v[4:5], v[200:201], s[0:1], v[204:205]
	v_fma_f64 v[52:53], v[200:201], s[4:5], -v[10:11]
	v_mul_f64 v[54:55], v[0:1], s[26:27]
	v_fma_f64 v[10:11], v[200:201], s[4:5], v[10:11]
	v_fma_f64 v[60:61], v[200:201], s[12:13], -v[58:59]
	v_mul_f64 v[62:63], v[0:1], s[34:35]
	v_fma_f64 v[58:59], v[200:201], s[12:13], v[58:59]
	v_fma_f64 v[6:7], v[202:203], s[0:1], -v[206:207]
	v_add_f64 v[4:5], v[96:97], v[4:5]
	v_add_f64 v[52:53], v[96:97], v[52:53]
	v_fma_f64 v[56:57], v[202:203], s[4:5], v[54:55]
	v_add_f64 v[10:11], v[96:97], v[10:11]
	v_fma_f64 v[54:55], v[202:203], s[4:5], -v[54:55]
	v_add_f64 v[60:61], v[96:97], v[60:61]
	v_fma_f64 v[64:65], v[202:203], s[12:13], v[62:63]
	v_add_f64 v[6:7], v[98:99], v[6:7]
	v_add_f64 v[4:5], v[90:91], v[4:5]
	v_fma_f64 v[90:91], v[210:211], s[4:5], -v[214:215]
	v_add_f64 v[58:59], v[96:97], v[58:59]
	v_fma_f64 v[62:63], v[202:203], s[12:13], -v[62:63]
	v_add_f64 v[54:55], v[98:99], v[54:55]
	v_add_f64 v[56:57], v[98:99], v[56:57]
	v_fma_f64 v[68:69], v[200:201], s[14:15], -v[66:67]
	v_mul_f64 v[70:71], v[0:1], s[22:23]
	v_fma_f64 v[66:67], v[200:201], s[14:15], v[66:67]
	v_add_f64 v[6:7], v[90:91], v[6:7]
	v_mul_f64 v[90:91], v[88:89], s[22:23]
	v_add_f64 v[62:63], v[98:99], v[62:63]
	v_add_f64 v[64:65], v[98:99], v[64:65]
	v_fma_f64 v[76:77], v[200:201], s[18:19], -v[74:75]
	v_add_f64 v[68:69], v[96:97], v[68:69]
	v_fma_f64 v[72:73], v[202:203], s[14:15], v[70:71]
	v_add_f64 v[66:67], v[96:97], v[66:67]
	v_fma_f64 v[70:71], v[202:203], s[14:15], -v[70:71]
	v_fma_f64 v[92:93], v[208:209], s[14:15], -v[90:91]
	v_fma_f64 v[90:91], v[208:209], s[14:15], v[90:91]
	v_mul_f64 v[78:79], v[0:1], s[24:25]
	v_add_f64 v[76:77], v[96:97], v[76:77]
	v_fma_f64 v[74:75], v[200:201], s[18:19], v[74:75]
	v_fma_f64 v[82:83], v[200:201], s[20:21], -v[2:3]
	v_mul_f64 v[0:1], v[0:1], s[28:29]
	v_add_f64 v[70:71], v[98:99], v[70:71]
	v_add_f64 v[52:53], v[92:93], v[52:53]
	v_mul_f64 v[92:93], v[86:87], s[22:23]
	v_add_f64 v[10:11], v[90:91], v[10:11]
	v_fma_f64 v[80:81], v[202:203], s[18:19], v[78:79]
	v_add_f64 v[74:75], v[96:97], v[74:75]
	v_fma_f64 v[78:79], v[202:203], s[18:19], -v[78:79]
	v_fma_f64 v[2:3], v[200:201], s[20:21], v[2:3]
	v_add_f64 v[82:83], v[96:97], v[82:83]
	v_fma_f64 v[84:85], v[202:203], s[20:21], v[0:1]
	v_fma_f64 v[90:91], v[210:211], s[14:15], -v[92:93]
	v_fma_f64 v[94:95], v[210:211], s[14:15], v[92:93]
	v_fma_f64 v[0:1], v[202:203], s[20:21], -v[0:1]
	v_add_f64 v[72:73], v[98:99], v[72:73]
	v_add_f64 v[78:79], v[98:99], v[78:79]
	;; [unrolled: 1-line block ×6, first 2 shown]
	v_mul_f64 v[90:91], v[88:89], s[28:29]
	v_add_f64 v[56:57], v[94:95], v[56:57]
	v_add_f64 v[0:1], v[98:99], v[0:1]
	v_fma_f64 v[92:93], v[208:209], s[20:21], -v[90:91]
	v_fma_f64 v[90:91], v[208:209], s[20:21], v[90:91]
	v_add_f64 v[60:61], v[92:93], v[60:61]
	v_mul_f64 v[92:93], v[86:87], s[28:29]
	v_add_f64 v[58:59], v[90:91], v[58:59]
	v_fma_f64 v[90:91], v[210:211], s[20:21], -v[92:93]
	v_fma_f64 v[94:95], v[210:211], s[20:21], v[92:93]
	v_add_f64 v[62:63], v[90:91], v[62:63]
	v_mul_f64 v[90:91], v[88:89], s[38:39]
	v_add_f64 v[64:65], v[94:95], v[64:65]
	v_fma_f64 v[92:93], v[208:209], s[18:19], -v[90:91]
	v_fma_f64 v[90:91], v[208:209], s[18:19], v[90:91]
	v_add_f64 v[68:69], v[92:93], v[68:69]
	v_mul_f64 v[92:93], v[86:87], s[38:39]
	v_add_f64 v[66:67], v[90:91], v[66:67]
	v_fma_f64 v[90:91], v[210:211], s[18:19], -v[92:93]
	v_fma_f64 v[94:95], v[210:211], s[18:19], v[92:93]
	v_add_f64 v[70:71], v[90:91], v[70:71]
	v_mul_f64 v[90:91], v[88:89], s[30:31]
	v_mul_f64 v[88:89], v[88:89], s[36:37]
	v_add_f64 v[72:73], v[94:95], v[72:73]
	v_fma_f64 v[92:93], v[208:209], s[12:13], -v[90:91]
	v_fma_f64 v[90:91], v[208:209], s[12:13], v[90:91]
	v_add_f64 v[76:77], v[92:93], v[76:77]
	v_mul_f64 v[92:93], v[86:87], s[30:31]
	v_add_f64 v[74:75], v[90:91], v[74:75]
	v_mul_f64 v[86:87], v[86:87], s[36:37]
	v_fma_f64 v[90:91], v[210:211], s[12:13], -v[92:93]
	v_fma_f64 v[94:95], v[210:211], s[12:13], v[92:93]
	v_add_f64 v[78:79], v[90:91], v[78:79]
	v_fma_f64 v[90:91], v[208:209], s[0:1], -v[88:89]
	v_fma_f64 v[88:89], v[208:209], s[0:1], v[88:89]
	v_add_f64 v[80:81], v[94:95], v[80:81]
	v_add_f64 v[82:83], v[90:91], v[82:83]
	v_fma_f64 v[90:91], v[210:211], s[0:1], v[86:87]
	v_add_f64 v[2:3], v[88:89], v[2:3]
	v_fma_f64 v[86:87], v[210:211], s[0:1], -v[86:87]
	v_add_f64 v[88:89], v[110:111], -v[142:143]
	v_add_f64 v[84:85], v[90:91], v[84:85]
	v_add_f64 v[0:1], v[86:87], v[0:1]
	v_add_f64 v[86:87], v[108:109], -v[140:141]
	v_mul_f64 v[220:221], v[88:89], s[34:35]
	v_mul_f64 v[222:223], v[86:87], s[34:35]
	v_fma_f64 v[90:91], v[216:217], s[12:13], v[220:221]
	v_add_f64 v[4:5], v[90:91], v[4:5]
	v_fma_f64 v[90:91], v[218:219], s[12:13], -v[222:223]
	v_add_f64 v[6:7], v[90:91], v[6:7]
	v_mul_f64 v[90:91], v[88:89], s[28:29]
	v_fma_f64 v[92:93], v[216:217], s[20:21], -v[90:91]
	v_fma_f64 v[90:91], v[216:217], s[20:21], v[90:91]
	v_add_f64 v[52:53], v[92:93], v[52:53]
	v_mul_f64 v[92:93], v[86:87], s[28:29]
	v_add_f64 v[10:11], v[90:91], v[10:11]
	v_fma_f64 v[90:91], v[218:219], s[20:21], -v[92:93]
	v_fma_f64 v[94:95], v[218:219], s[20:21], v[92:93]
	v_add_f64 v[54:55], v[90:91], v[54:55]
	v_mul_f64 v[90:91], v[88:89], s[46:47]
	v_add_f64 v[56:57], v[94:95], v[56:57]
	v_fma_f64 v[92:93], v[216:217], s[14:15], -v[90:91]
	v_fma_f64 v[90:91], v[216:217], s[14:15], v[90:91]
	v_add_f64 v[60:61], v[92:93], v[60:61]
	v_mul_f64 v[92:93], v[86:87], s[46:47]
	v_add_f64 v[58:59], v[90:91], v[58:59]
	v_fma_f64 v[90:91], v[218:219], s[14:15], -v[92:93]
	v_fma_f64 v[94:95], v[218:219], s[14:15], v[92:93]
	v_add_f64 v[62:63], v[90:91], v[62:63]
	v_mul_f64 v[90:91], v[88:89], s[36:37]
	v_add_f64 v[64:65], v[94:95], v[64:65]
	v_fma_f64 v[92:93], v[216:217], s[0:1], -v[90:91]
	v_fma_f64 v[90:91], v[216:217], s[0:1], v[90:91]
	v_add_f64 v[68:69], v[92:93], v[68:69]
	v_mul_f64 v[92:93], v[86:87], s[36:37]
	v_add_f64 v[66:67], v[90:91], v[66:67]
	v_fma_f64 v[90:91], v[218:219], s[0:1], -v[92:93]
	v_fma_f64 v[94:95], v[218:219], s[0:1], v[92:93]
	v_add_f64 v[70:71], v[90:91], v[70:71]
	v_mul_f64 v[90:91], v[88:89], s[26:27]
	v_mul_f64 v[88:89], v[88:89], s[24:25]
	v_add_f64 v[72:73], v[94:95], v[72:73]
	v_fma_f64 v[92:93], v[216:217], s[4:5], -v[90:91]
	v_fma_f64 v[90:91], v[216:217], s[4:5], v[90:91]
	v_add_f64 v[76:77], v[92:93], v[76:77]
	v_mul_f64 v[92:93], v[86:87], s[26:27]
	v_add_f64 v[74:75], v[90:91], v[74:75]
	v_mul_f64 v[86:87], v[86:87], s[24:25]
	v_fma_f64 v[90:91], v[218:219], s[4:5], -v[92:93]
	v_fma_f64 v[94:95], v[218:219], s[4:5], v[92:93]
	v_add_f64 v[78:79], v[90:91], v[78:79]
	v_fma_f64 v[90:91], v[216:217], s[18:19], -v[88:89]
	v_fma_f64 v[88:89], v[216:217], s[18:19], v[88:89]
	v_add_f64 v[80:81], v[94:95], v[80:81]
	v_add_f64 v[82:83], v[90:91], v[82:83]
	v_fma_f64 v[90:91], v[218:219], s[18:19], v[86:87]
	v_add_f64 v[2:3], v[88:89], v[2:3]
	v_fma_f64 v[86:87], v[218:219], s[18:19], -v[86:87]
	v_add_f64 v[88:89], v[114:115], -v[138:139]
	v_add_f64 v[84:85], v[90:91], v[84:85]
	v_add_f64 v[0:1], v[86:87], v[0:1]
	v_add_f64 v[86:87], v[112:113], -v[136:137]
	v_mul_f64 v[228:229], v[88:89], s[22:23]
	v_mul_f64 v[230:231], v[86:87], s[22:23]
	v_fma_f64 v[90:91], v[224:225], s[14:15], v[228:229]
	v_add_f64 v[4:5], v[90:91], v[4:5]
	v_fma_f64 v[90:91], v[226:227], s[14:15], -v[230:231]
	v_add_f64 v[6:7], v[90:91], v[6:7]
	v_mul_f64 v[90:91], v[88:89], s[38:39]
	v_fma_f64 v[92:93], v[224:225], s[18:19], -v[90:91]
	v_fma_f64 v[90:91], v[224:225], s[18:19], v[90:91]
	v_add_f64 v[52:53], v[92:93], v[52:53]
	v_mul_f64 v[92:93], v[86:87], s[38:39]
	v_add_f64 v[10:11], v[90:91], v[10:11]
	v_fma_f64 v[90:91], v[226:227], s[18:19], -v[92:93]
	v_fma_f64 v[94:95], v[226:227], s[18:19], v[92:93]
	v_add_f64 v[54:55], v[90:91], v[54:55]
	v_mul_f64 v[90:91], v[88:89], s[36:37]
	;; [unrolled: 58-line block ×3, first 2 shown]
	v_add_f64 v[94:95], v[94:95], v[56:57]
	v_fma_f64 v[6:7], v[235:236], s[4:5], -v[4:5]
	v_fma_f64 v[4:5], v[235:236], s[4:5], v[4:5]
	v_add_f64 v[246:247], v[6:7], v[60:61]
	v_mul_f64 v[6:7], v[86:87], s[26:27]
	v_add_f64 v[250:251], v[4:5], v[58:59]
	v_fma_f64 v[4:5], v[237:238], s[4:5], -v[6:7]
	v_fma_f64 v[54:55], v[237:238], s[4:5], v[6:7]
	v_add_f64 v[252:253], v[4:5], v[62:63]
	v_mul_f64 v[4:5], v[88:89], s[44:45]
	v_add_f64 v[248:249], v[54:55], v[64:65]
	v_mul_f64 v[62:63], v[30:31], s[36:37]
	v_fma_f64 v[6:7], v[235:236], s[20:21], -v[4:5]
	v_fma_f64 v[4:5], v[235:236], s[20:21], v[4:5]
	v_add_f64 v[254:255], v[6:7], v[68:69]
	v_mul_f64 v[6:7], v[86:87], s[44:45]
	v_add_f64 v[12:13], v[4:5], v[66:67]
	v_fma_f64 v[4:5], v[237:238], s[20:21], -v[6:7]
	v_fma_f64 v[54:55], v[237:238], s[20:21], v[6:7]
	v_add_f64 v[14:15], v[4:5], v[70:71]
	v_mul_f64 v[4:5], v[88:89], s[36:37]
	v_add_f64 v[8:9], v[54:55], v[72:73]
	v_mul_f64 v[70:71], v[30:31], s[24:25]
	v_fma_f64 v[6:7], v[235:236], s[0:1], -v[4:5]
	v_fma_f64 v[4:5], v[235:236], s[0:1], v[4:5]
	v_add_f64 v[76:77], v[6:7], v[76:77]
	v_mul_f64 v[6:7], v[86:87], s[36:37]
	v_add_f64 v[18:19], v[4:5], v[74:75]
	v_fma_f64 v[4:5], v[237:238], s[0:1], -v[6:7]
	v_fma_f64 v[54:55], v[237:238], s[0:1], v[6:7]
	v_add_f64 v[20:21], v[4:5], v[78:79]
	v_mul_f64 v[4:5], v[88:89], s[22:23]
	v_add_f64 v[88:89], v[126:127], -v[130:131]
	v_add_f64 v[16:17], v[54:55], v[80:81]
	v_mul_f64 v[78:79], v[30:31], s[40:41]
	v_fma_f64 v[6:7], v[235:236], s[14:15], -v[4:5]
	v_fma_f64 v[4:5], v[235:236], s[14:15], v[4:5]
	v_mul_f64 v[60:61], v[88:89], s[36:37]
	v_add_f64 v[22:23], v[6:7], v[82:83]
	v_mul_f64 v[6:7], v[86:87], s[22:23]
	v_add_f64 v[26:27], v[4:5], v[2:3]
	v_mul_f64 v[4:5], v[88:89], s[28:29]
	v_fma_f64 v[2:3], v[237:238], s[14:15], -v[6:7]
	v_fma_f64 v[54:55], v[237:238], s[14:15], v[6:7]
	v_mul_f64 v[6:7], v[30:31], s[28:29]
	v_add_f64 v[28:29], v[2:3], v[0:1]
	v_add_f64 v[0:1], v[124:125], v[128:129]
	v_add_f64 v[24:25], v[54:55], v[84:85]
	v_add_f64 v[2:3], v[126:127], v[130:131]
	v_fma_f64 v[54:55], v[0:1], s[20:21], v[4:5]
	v_fma_f64 v[66:67], v[2:3], s[18:19], v[70:71]
	;; [unrolled: 1-line block ×3, first 2 shown]
	v_add_f64 v[56:57], v[54:55], v[90:91]
	v_fma_f64 v[54:55], v[2:3], s[20:21], -v[6:7]
	v_add_f64 v[66:67], v[66:67], v[248:249]
	v_add_f64 v[74:75], v[74:75], v[8:9]
	;; [unrolled: 1-line block ×3, first 2 shown]
	v_fma_f64 v[54:55], v[0:1], s[0:1], -v[60:61]
	v_fma_f64 v[60:61], v[0:1], s[0:1], v[60:61]
	v_add_f64 v[52:53], v[54:55], v[52:53]
	v_add_f64 v[60:61], v[60:61], v[10:11]
	v_fma_f64 v[10:11], v[2:3], s[0:1], -v[62:63]
	v_fma_f64 v[54:55], v[2:3], s[0:1], v[62:63]
	v_add_f64 v[62:63], v[10:11], v[244:245]
	v_mul_f64 v[10:11], v[88:89], s[24:25]
	v_add_f64 v[54:55], v[54:55], v[94:95]
	v_fma_f64 v[64:65], v[0:1], s[18:19], -v[10:11]
	v_fma_f64 v[10:11], v[0:1], s[18:19], v[10:11]
	v_add_f64 v[64:65], v[64:65], v[246:247]
	v_add_f64 v[68:69], v[10:11], v[250:251]
	v_fma_f64 v[10:11], v[2:3], s[18:19], -v[70:71]
	v_add_f64 v[70:71], v[10:11], v[252:253]
	v_mul_f64 v[10:11], v[88:89], s[40:41]
	v_fma_f64 v[8:9], v[0:1], s[4:5], v[10:11]
	v_fma_f64 v[72:73], v[0:1], s[4:5], -v[10:11]
	v_add_f64 v[80:81], v[8:9], v[12:13]
	v_fma_f64 v[8:9], v[2:3], s[4:5], -v[78:79]
	v_add_f64 v[72:73], v[72:73], v[254:255]
	v_add_f64 v[82:83], v[8:9], v[14:15]
	v_mul_f64 v[8:9], v[88:89], s[22:23]
	v_fma_f64 v[10:11], v[0:1], s[14:15], -v[8:9]
	v_fma_f64 v[8:9], v[0:1], s[14:15], v[8:9]
	v_add_f64 v[76:77], v[10:11], v[76:77]
	v_mul_f64 v[10:11], v[30:31], s[22:23]
	v_add_f64 v[84:85], v[8:9], v[18:19]
	v_fma_f64 v[8:9], v[2:3], s[14:15], -v[10:11]
	v_fma_f64 v[12:13], v[2:3], s[14:15], v[10:11]
	v_add_f64 v[86:87], v[8:9], v[20:21]
	v_mul_f64 v[8:9], v[88:89], s[30:31]
	v_add_f64 v[78:79], v[12:13], v[16:17]
	;; [unrolled: 5-line block ×3, first 2 shown]
	v_mul_u32_u24_e32 v31, 13, v33
	v_fma_f64 v[12:13], v[2:3], s[12:13], v[10:11]
	v_fma_f64 v[8:9], v[2:3], s[12:13], -v[10:11]
	v_add_f64 v[90:91], v[12:13], v[24:25]
	v_add_f64 v[94:95], v[8:9], v[28:29]
	v_mul_lo_u16_e32 v8, 13, v32
	v_lshl_add_u32 v255, v8, 4, v47
	ds_write_b128 v255, v[148:151]
	ds_write_b128 v255, v[156:159] offset:16
	ds_write_b128 v255, v[164:167] offset:32
	ds_write_b128 v255, v[172:175] offset:48
	ds_write_b128 v255, v[176:179] offset:64
	ds_write_b128 v255, v[184:187] offset:80
	ds_write_b128 v255, v[192:195] offset:96
	ds_write_b128 v255, v[196:199] offset:112
	ds_write_b128 v255, v[188:191] offset:128
	ds_write_b128 v255, v[180:183] offset:144
	ds_write_b128 v255, v[168:171] offset:160
	ds_write_b128 v255, v[160:163] offset:176
	ds_write_b128 v255, v[152:155] offset:192
	s_and_saveexec_b64 s[22:23], vcc
	s_cbranch_execz .LBB0_7
; %bb.6:
	v_add_f64 v[8:9], v[98:99], v[102:103]
	v_add_f64 v[10:11], v[96:97], v[100:101]
	v_mul_f64 v[12:13], v[202:203], s[0:1]
	v_mul_f64 v[14:15], v[200:201], s[0:1]
	;; [unrolled: 1-line block ×6, first 2 shown]
	v_add_f64 v[8:9], v[8:9], v[106:107]
	v_add_f64 v[10:11], v[10:11], v[104:105]
	;; [unrolled: 1-line block ×3, first 2 shown]
	v_add_f64 v[14:15], v[14:15], -v[204:205]
	v_add_f64 v[16:17], v[214:215], v[16:17]
	v_add_f64 v[18:19], v[18:19], -v[212:213]
	v_mul_f64 v[24:25], v[224:225], s[14:15]
	v_mul_f64 v[26:27], v[226:227], s[14:15]
	v_add_f64 v[8:9], v[8:9], v[110:111]
	v_add_f64 v[10:11], v[10:11], v[108:109]
	;; [unrolled: 1-line block ×5, first 2 shown]
	v_add_f64 v[20:21], v[20:21], -v[220:221]
	v_add_f64 v[24:25], v[24:25], -v[228:229]
	v_add_f64 v[26:27], v[230:231], v[26:27]
	v_add_f64 v[8:9], v[8:9], v[114:115]
	;; [unrolled: 1-line block ×5, first 2 shown]
	v_mul_f64 v[16:17], v[235:236], s[18:19]
	v_mul_f64 v[18:19], v[237:238], s[18:19]
	;; [unrolled: 1-line block ×4, first 2 shown]
	v_add_f64 v[8:9], v[8:9], v[122:123]
	v_add_f64 v[10:11], v[10:11], v[120:121]
	;; [unrolled: 1-line block ×4, first 2 shown]
	v_add_f64 v[16:17], v[16:17], -v[239:240]
	v_add_f64 v[18:19], v[241:242], v[18:19]
	v_add_f64 v[0:1], v[0:1], -v[4:5]
	v_add_f64 v[2:3], v[6:7], v[2:3]
	v_add_f64 v[8:9], v[8:9], v[126:127]
	;; [unrolled: 1-line block ×5, first 2 shown]
	v_lshl_add_u32 v20, v31, 4, v47
	ds_write_b128 v20, v[52:55] offset:32
	ds_write_b128 v20, v[64:67] offset:48
	ds_write_b128 v20, v[72:75] offset:64
	ds_write_b128 v20, v[76:79] offset:80
	v_add_f64 v[8:9], v[8:9], v[130:131]
	v_add_f64 v[10:11], v[10:11], v[128:129]
	v_add_f64 v[4:5], v[18:19], v[12:13]
	v_add_f64 v[6:7], v[16:17], v[14:15]
	v_add_f64 v[8:9], v[8:9], v[134:135]
	v_add_f64 v[10:11], v[10:11], v[132:133]
	v_add_f64 v[2:3], v[2:3], v[4:5]
	v_add_f64 v[0:1], v[0:1], v[6:7]
	v_add_f64 v[8:9], v[8:9], v[138:139]
	v_add_f64 v[10:11], v[10:11], v[136:137]
	v_add_f64 v[8:9], v[8:9], v[142:143]
	v_add_f64 v[10:11], v[10:11], v[140:141]
	v_add_f64 v[8:9], v[8:9], v[146:147]
	v_add_f64 v[10:11], v[10:11], v[144:145]
	v_add_f64 v[6:7], v[8:9], v[118:119]
	v_add_f64 v[4:5], v[10:11], v[116:117]
	ds_write_b128 v20, v[88:91] offset:96
	ds_write_b128 v20, v[92:95] offset:112
	;; [unrolled: 1-line block ×7, first 2 shown]
	ds_write_b128 v20, v[4:7]
	ds_write_b128 v20, v[56:59] offset:192
.LBB0_7:
	s_or_b64 exec, exec, s[22:23]
	v_lshlrev_b32_e32 v6, 6, v32
	s_waitcnt lgkmcnt(0)
	; wave barrier
	s_waitcnt lgkmcnt(0)
	ds_read_b128 v[146:149], v234
	ds_read_b128 v[2:5], v234 offset:624
	ds_read_b128 v[112:115], v234 offset:1248
	;; [unrolled: 1-line block ×14, first 2 shown]
	global_load_dwordx4 v[96:99], v6, s[2:3] offset:48
	global_load_dwordx4 v[100:103], v6, s[2:3] offset:32
	;; [unrolled: 1-line block ×3, first 2 shown]
	global_load_dwordx4 v[108:111], v6, s[2:3]
	v_add_co_u32_e64 v11, s[0:1], 26, v32
	v_add_co_u32_e64 v0, s[0:1], s2, v6
	v_mov_b32_e32 v1, s3
	v_addc_co_u32_e64 v1, s[0:1], 0, v1, s[0:1]
	s_movk_i32 s0, 0x4f
	s_add_u32 s4, s16, 0xc30
	s_mov_b32 s14, 0x134454ff
	s_addc_u32 s5, s17, 0
	s_mov_b32 s15, 0x3fee6f0e
	s_mov_b32 s17, 0xbfee6f0e
	;; [unrolled: 1-line block ×7, first 2 shown]
	v_lshlrev_b32_e32 v10, 5, v32
	v_lshlrev_b32_e32 v9, 5, v11
	s_waitcnt vmcnt(0) lgkmcnt(13)
	v_mul_f64 v[6:7], v[4:5], v[110:111]
	v_fma_f64 v[166:167], v[2:3], v[108:109], -v[6:7]
	v_mul_f64 v[2:3], v[2:3], v[110:111]
	v_fma_f64 v[152:153], v[4:5], v[108:109], v[2:3]
	s_waitcnt lgkmcnt(12)
	v_mul_f64 v[2:3], v[114:115], v[106:107]
	v_fma_f64 v[142:143], v[112:113], v[104:105], -v[2:3]
	v_mul_f64 v[2:3], v[112:113], v[106:107]
	v_add_f64 v[14:15], v[166:167], -v[142:143]
	v_fma_f64 v[156:157], v[114:115], v[104:105], v[2:3]
	s_waitcnt lgkmcnt(11)
	v_mul_f64 v[2:3], v[118:119], v[102:103]
	v_fma_f64 v[162:163], v[116:117], v[100:101], -v[2:3]
	v_mul_f64 v[2:3], v[116:117], v[102:103]
	v_fma_f64 v[158:159], v[118:119], v[100:101], v[2:3]
	s_waitcnt lgkmcnt(10)
	v_mul_f64 v[2:3], v[122:123], v[98:99]
	v_add_f64 v[12:13], v[156:157], -v[158:159]
	v_fma_f64 v[170:171], v[120:121], v[96:97], -v[2:3]
	v_mul_f64 v[2:3], v[120:121], v[98:99]
	v_add_f64 v[16:17], v[170:171], -v[162:163]
	v_fma_f64 v[160:161], v[122:123], v[96:97], v[2:3]
	s_waitcnt lgkmcnt(8)
	v_mul_f64 v[2:3], v[126:127], v[110:111]
	v_add_f64 v[14:15], v[14:15], v[16:17]
	v_add_f64 v[5:6], v[152:153], -v[160:161]
	v_fma_f64 v[164:165], v[124:125], v[108:109], -v[2:3]
	v_mul_f64 v[2:3], v[124:125], v[110:111]
	v_add_f64 v[16:17], v[162:163], -v[170:171]
	v_fma_f64 v[172:173], v[126:127], v[108:109], v[2:3]
	s_waitcnt lgkmcnt(7)
	v_mul_f64 v[2:3], v[138:139], v[106:107]
	v_fma_f64 v[168:169], v[136:137], v[104:105], -v[2:3]
	v_mul_f64 v[2:3], v[136:137], v[106:107]
	v_fma_f64 v[190:191], v[138:139], v[104:105], v[2:3]
	s_waitcnt lgkmcnt(6)
	v_mul_f64 v[2:3], v[176:177], v[102:103]
	v_fma_f64 v[196:197], v[174:175], v[100:101], -v[2:3]
	v_mul_f64 v[2:3], v[174:175], v[102:103]
	;; [unrolled: 5-line block ×3, first 2 shown]
	v_fma_f64 v[194:195], v[180:181], v[96:97], v[2:3]
	v_mul_lo_u16_sdwa v2, v11, s0 dst_sel:DWORD dst_unused:UNUSED_PAD src0_sel:BYTE_0 src1_sel:DWORD
	v_lshrrev_b16_e32 v2, 10, v2
	v_mul_lo_u16_e32 v2, 13, v2
	v_sub_u16_e32 v2, v11, v2
	v_lshlrev_b16_e32 v3, 2, v2
	v_and_b32_e32 v3, 0xfc, v3
	v_lshlrev_b32_e32 v3, 4, v3
	global_load_dwordx4 v[112:115], v3, s[2:3] offset:48
	global_load_dwordx4 v[116:119], v3, s[2:3] offset:32
	;; [unrolled: 1-line block ×3, first 2 shown]
	global_load_dwordx4 v[124:127], v3, s[2:3]
	s_mov_b32 s0, 0x372fe950
	s_mov_b32 s1, 0x3fd3c6ef
	v_and_b32_e32 v2, 0xff, v2
	s_waitcnt lgkmcnt(0)
	; wave barrier
	s_waitcnt vmcnt(0) lgkmcnt(0)
	v_mul_f64 v[3:4], v[186:187], v[126:127]
	v_fma_f64 v[182:183], v[184:185], v[124:125], -v[3:4]
	v_mul_f64 v[3:4], v[184:185], v[126:127]
	v_fma_f64 v[174:175], v[186:187], v[124:125], v[3:4]
	v_mul_f64 v[3:4], v[202:203], v[122:123]
	v_fma_f64 v[184:185], v[200:201], v[120:121], -v[3:4]
	v_mul_f64 v[3:4], v[200:201], v[122:123]
	v_fma_f64 v[176:177], v[202:203], v[120:121], v[3:4]
	;; [unrolled: 4-line block ×3, first 2 shown]
	v_mul_f64 v[3:4], v[210:211], v[114:115]
	v_fma_f64 v[188:189], v[208:209], v[112:113], -v[3:4]
	v_mul_f64 v[3:4], v[208:209], v[114:115]
	v_add_f64 v[18:19], v[188:189], -v[186:187]
	v_fma_f64 v[180:181], v[210:211], v[112:113], v[3:4]
	v_add_f64 v[3:4], v[146:147], v[166:167]
	v_add_f64 v[20:21], v[180:181], -v[178:179]
	v_add_f64 v[3:4], v[3:4], v[142:143]
	v_add_f64 v[3:4], v[3:4], v[162:163]
	;; [unrolled: 1-line block ×4, first 2 shown]
	v_fma_f64 v[3:4], v[3:4], -0.5, v[146:147]
	v_fma_f64 v[7:8], v[5:6], s[14:15], v[3:4]
	v_fma_f64 v[3:4], v[5:6], s[16:17], v[3:4]
	v_fma_f64 v[7:8], v[12:13], s[12:13], v[7:8]
	v_fma_f64 v[3:4], v[12:13], s[18:19], v[3:4]
	v_fma_f64 v[140:141], v[14:15], s[0:1], v[7:8]
	v_fma_f64 v[144:145], v[14:15], s[0:1], v[3:4]
	v_add_f64 v[3:4], v[166:167], v[170:171]
	v_add_f64 v[14:15], v[142:143], -v[166:167]
	v_fma_f64 v[3:4], v[3:4], -0.5, v[146:147]
	v_add_f64 v[14:15], v[14:15], v[16:17]
	v_add_f64 v[16:17], v[160:161], -v[158:159]
	v_fma_f64 v[7:8], v[12:13], s[16:17], v[3:4]
	v_fma_f64 v[3:4], v[12:13], s[14:15], v[3:4]
	v_add_f64 v[12:13], v[142:143], -v[162:163]
	v_fma_f64 v[7:8], v[5:6], s[12:13], v[7:8]
	v_fma_f64 v[3:4], v[5:6], s[18:19], v[3:4]
	v_add_f64 v[5:6], v[166:167], -v[170:171]
	v_fma_f64 v[154:155], v[14:15], s[0:1], v[7:8]
	v_fma_f64 v[150:151], v[14:15], s[0:1], v[3:4]
	v_add_f64 v[3:4], v[148:149], v[152:153]
	v_add_f64 v[14:15], v[152:153], -v[156:157]
	v_add_f64 v[3:4], v[3:4], v[156:157]
	v_add_f64 v[14:15], v[14:15], v[16:17]
	v_add_f64 v[16:17], v[158:159], -v[160:161]
	v_add_f64 v[3:4], v[3:4], v[158:159]
	v_add_f64 v[138:139], v[3:4], v[160:161]
	v_add_f64 v[3:4], v[156:157], v[158:159]
	v_fma_f64 v[3:4], v[3:4], -0.5, v[148:149]
	v_fma_f64 v[7:8], v[5:6], s[16:17], v[3:4]
	v_fma_f64 v[3:4], v[5:6], s[14:15], v[3:4]
	v_fma_f64 v[7:8], v[12:13], s[18:19], v[7:8]
	v_fma_f64 v[3:4], v[12:13], s[12:13], v[3:4]
	v_fma_f64 v[142:143], v[14:15], s[0:1], v[7:8]
	v_fma_f64 v[146:147], v[14:15], s[0:1], v[3:4]
	v_add_f64 v[3:4], v[152:153], v[160:161]
	v_add_f64 v[14:15], v[156:157], -v[152:153]
	v_fma_f64 v[3:4], v[3:4], -0.5, v[148:149]
	v_add_f64 v[14:15], v[14:15], v[16:17]
	v_add_f64 v[16:17], v[198:199], -v[196:197]
	v_fma_f64 v[7:8], v[12:13], s[14:15], v[3:4]
	v_fma_f64 v[3:4], v[12:13], s[16:17], v[3:4]
	v_add_f64 v[12:13], v[190:191], -v[192:193]
	v_fma_f64 v[7:8], v[5:6], s[18:19], v[7:8]
	v_fma_f64 v[3:4], v[5:6], s[12:13], v[3:4]
	v_add_f64 v[5:6], v[172:173], -v[194:195]
	v_fma_f64 v[156:157], v[14:15], s[0:1], v[7:8]
	v_fma_f64 v[152:153], v[14:15], s[0:1], v[3:4]
	v_add_f64 v[3:4], v[132:133], v[164:165]
	v_add_f64 v[14:15], v[164:165], -v[168:169]
	v_add_f64 v[3:4], v[3:4], v[168:169]
	v_add_f64 v[14:15], v[14:15], v[16:17]
	v_add_f64 v[16:17], v[196:197], -v[198:199]
	v_add_f64 v[3:4], v[3:4], v[196:197]
	v_add_f64 v[158:159], v[3:4], v[198:199]
	v_add_f64 v[3:4], v[168:169], v[196:197]
	;; [unrolled: 28-line block ×3, first 2 shown]
	v_fma_f64 v[3:4], v[3:4], -0.5, v[134:135]
	v_fma_f64 v[7:8], v[5:6], s[16:17], v[3:4]
	v_fma_f64 v[3:4], v[5:6], s[14:15], v[3:4]
	v_fma_f64 v[7:8], v[12:13], s[18:19], v[7:8]
	v_fma_f64 v[3:4], v[12:13], s[12:13], v[3:4]
	v_fma_f64 v[168:169], v[14:15], s[0:1], v[7:8]
	v_fma_f64 v[164:165], v[14:15], s[0:1], v[3:4]
	v_add_f64 v[3:4], v[172:173], v[194:195]
	v_add_f64 v[14:15], v[190:191], -v[172:173]
	v_fma_f64 v[3:4], v[3:4], -0.5, v[134:135]
	v_add_f64 v[14:15], v[14:15], v[16:17]
	v_add_f64 v[16:17], v[182:183], -v[184:185]
	v_fma_f64 v[7:8], v[12:13], s[14:15], v[3:4]
	v_fma_f64 v[3:4], v[12:13], s[16:17], v[3:4]
	v_add_f64 v[16:17], v[16:17], v[18:19]
	v_add_f64 v[18:19], v[186:187], -v[188:189]
	v_fma_f64 v[7:8], v[5:6], s[18:19], v[7:8]
	v_fma_f64 v[3:4], v[5:6], s[12:13], v[3:4]
	v_add_f64 v[5:6], v[184:185], v[186:187]
	v_fma_f64 v[172:173], v[14:15], s[0:1], v[7:8]
	v_add_f64 v[7:8], v[174:175], -v[180:181]
	v_fma_f64 v[5:6], v[5:6], -0.5, v[128:129]
	v_fma_f64 v[134:135], v[14:15], s[0:1], v[3:4]
	v_add_f64 v[14:15], v[176:177], -v[178:179]
	v_add_f64 v[3:4], v[128:129], v[182:183]
	ds_write_b128 v234, v[136:139]
	ds_write_b128 v234, v[140:143] offset:208
	ds_write_b128 v234, v[154:157] offset:416
	;; [unrolled: 1-line block ×9, first 2 shown]
	v_fma_f64 v[12:13], v[7:8], s[14:15], v[5:6]
	v_fma_f64 v[5:6], v[7:8], s[16:17], v[5:6]
	v_add_f64 v[3:4], v[3:4], v[184:185]
	v_fma_f64 v[12:13], v[14:15], s[12:13], v[12:13]
	v_fma_f64 v[5:6], v[14:15], s[18:19], v[5:6]
	v_add_f64 v[3:4], v[3:4], v[186:187]
	;; [unrolled: 3-line block ×3, first 2 shown]
	v_add_f64 v[16:17], v[184:185], -v[182:183]
	v_add_f64 v[3:4], v[3:4], v[188:189]
	v_fma_f64 v[5:6], v[5:6], -0.5, v[128:129]
	v_add_f64 v[16:17], v[16:17], v[18:19]
	v_add_f64 v[18:19], v[174:175], -v[176:177]
	v_fma_f64 v[12:13], v[14:15], s[16:17], v[5:6]
	v_fma_f64 v[5:6], v[14:15], s[14:15], v[5:6]
	v_add_f64 v[18:19], v[18:19], v[20:21]
	v_add_f64 v[20:21], v[178:179], -v[180:181]
	v_fma_f64 v[12:13], v[7:8], s[12:13], v[12:13]
	v_fma_f64 v[5:6], v[7:8], s[18:19], v[5:6]
	v_add_f64 v[7:8], v[176:177], v[178:179]
	v_fma_f64 v[128:129], v[16:17], s[0:1], v[12:13]
	v_add_f64 v[12:13], v[182:183], -v[188:189]
	v_fma_f64 v[7:8], v[7:8], -0.5, v[130:131]
	v_fma_f64 v[198:199], v[16:17], s[0:1], v[5:6]
	v_add_f64 v[16:17], v[184:185], -v[186:187]
	v_add_f64 v[5:6], v[130:131], v[174:175]
	v_fma_f64 v[14:15], v[12:13], s[16:17], v[7:8]
	v_fma_f64 v[7:8], v[12:13], s[14:15], v[7:8]
	v_add_f64 v[5:6], v[5:6], v[176:177]
	v_fma_f64 v[14:15], v[16:17], s[18:19], v[14:15]
	v_fma_f64 v[7:8], v[16:17], s[12:13], v[7:8]
	v_add_f64 v[5:6], v[5:6], v[178:179]
	v_fma_f64 v[192:193], v[18:19], s[0:1], v[14:15]
	v_fma_f64 v[196:197], v[18:19], s[0:1], v[7:8]
	v_add_f64 v[7:8], v[174:175], v[180:181]
	v_add_f64 v[18:19], v[176:177], -v[174:175]
	v_add_f64 v[5:6], v[5:6], v[180:181]
	v_fma_f64 v[7:8], v[7:8], -0.5, v[130:131]
	v_add_f64 v[18:19], v[18:19], v[20:21]
	v_fma_f64 v[14:15], v[16:17], s[14:15], v[7:8]
	v_fma_f64 v[7:8], v[16:17], s[16:17], v[7:8]
	;; [unrolled: 1-line block ×6, first 2 shown]
	v_sub_co_u32_e64 v0, s[0:1], v0, v10
	v_lshl_add_u32 v8, v2, 4, v47
	v_subbrev_co_u32_e64 v1, s[0:1], 0, v1, s[0:1]
	ds_write_b128 v8, v[3:6] offset:2080
	ds_write_b128 v8, v[190:193] offset:2288
	;; [unrolled: 1-line block ×5, first 2 shown]
	s_waitcnt lgkmcnt(0)
	; wave barrier
	s_waitcnt lgkmcnt(0)
	ds_read_b128 v[184:187], v234
	ds_read_b128 v[2:5], v234 offset:1040
	ds_read_b128 v[136:139], v234 offset:2080
	;; [unrolled: 1-line block ×14, first 2 shown]
	global_load_dwordx4 v[128:131], v[0:1], off offset:848
	global_load_dwordx4 v[132:135], v[0:1], off offset:832
	s_mov_b32 s0, 0xe8584caa
	s_mov_b32 s1, 0x3febb67a
	s_waitcnt vmcnt(0) lgkmcnt(13)
	v_mul_f64 v[0:1], v[4:5], v[134:135]
	v_fma_f64 v[12:13], v[2:3], v[132:133], -v[0:1]
	v_mul_f64 v[0:1], v[2:3], v[134:135]
	v_add_f64 v[26:27], v[184:185], v[12:13]
	v_fma_f64 v[14:15], v[4:5], v[132:133], v[0:1]
	s_waitcnt lgkmcnt(12)
	v_mul_f64 v[0:1], v[138:139], v[130:131]
	v_fma_f64 v[16:17], v[136:137], v[128:129], -v[0:1]
	v_mul_f64 v[0:1], v[136:137], v[130:131]
	v_fma_f64 v[18:19], v[138:139], v[128:129], v[0:1]
	v_lshlrev_b32_e32 v0, 5, v33
	global_load_dwordx4 v[136:139], v0, s[2:3] offset:848
	global_load_dwordx4 v[140:143], v0, s[2:3] offset:832
	v_add_f64 v[28:29], v[14:15], -v[18:19]
	s_waitcnt vmcnt(1) lgkmcnt(9)
	v_mul_f64 v[4:5], v[150:151], v[138:139]
	s_waitcnt vmcnt(0)
	v_mul_f64 v[0:1], v[146:147], v[142:143]
	v_mul_f64 v[2:3], v[144:145], v[142:143]
	;; [unrolled: 1-line block ×3, first 2 shown]
	v_fma_f64 v[4:5], v[148:149], v[136:137], -v[4:5]
	v_fma_f64 v[0:1], v[144:145], v[140:141], -v[0:1]
	v_fma_f64 v[2:3], v[146:147], v[140:141], v[2:3]
	v_fma_f64 v[6:7], v[150:151], v[136:137], v[6:7]
	global_load_dwordx4 v[144:147], v9, s[2:3] offset:848
	global_load_dwordx4 v[148:151], v9, s[2:3] offset:832
	v_add_u32_e32 v9, 0x4e0, v10
	s_waitcnt vmcnt(0) lgkmcnt(7)
	v_mul_f64 v[20:21], v[154:155], v[150:151]
	v_fma_f64 v[204:205], v[152:153], v[148:149], -v[20:21]
	v_mul_f64 v[20:21], v[152:153], v[150:151]
	v_fma_f64 v[206:207], v[154:155], v[148:149], v[20:21]
	s_waitcnt lgkmcnt(6)
	v_mul_f64 v[20:21], v[158:159], v[146:147]
	v_fma_f64 v[208:209], v[156:157], v[144:145], -v[20:21]
	v_mul_f64 v[20:21], v[156:157], v[146:147]
	v_fma_f64 v[210:211], v[158:159], v[144:145], v[20:21]
	global_load_dwordx4 v[152:155], v9, s[2:3] offset:848
	global_load_dwordx4 v[156:159], v9, s[2:3] offset:832
	v_add_u32_e32 v9, 0x680, v10
	s_waitcnt vmcnt(0) lgkmcnt(4)
	v_mul_f64 v[20:21], v[162:163], v[158:159]
	v_fma_f64 v[196:197], v[160:161], v[156:157], -v[20:21]
	v_mul_f64 v[20:21], v[160:161], v[158:159]
	v_fma_f64 v[198:199], v[162:163], v[156:157], v[20:21]
	s_waitcnt lgkmcnt(3)
	v_mul_f64 v[20:21], v[166:167], v[154:155]
	v_fma_f64 v[200:201], v[164:165], v[152:153], -v[20:21]
	v_mul_f64 v[20:21], v[164:165], v[154:155]
	v_fma_f64 v[202:203], v[166:167], v[152:153], v[20:21]
	global_load_dwordx4 v[160:163], v9, s[2:3] offset:848
	global_load_dwordx4 v[164:167], v9, s[2:3] offset:832
	s_mov_b32 s3, 0xbfebb67a
	s_mov_b32 s2, s0
	s_waitcnt vmcnt(1) lgkmcnt(0)
	v_mul_f64 v[22:23], v[190:191], v[162:163]
	v_mul_f64 v[24:25], v[188:189], v[162:163]
	s_waitcnt vmcnt(0)
	v_mul_f64 v[9:10], v[194:195], v[166:167]
	v_mul_f64 v[20:21], v[192:193], v[166:167]
	v_fma_f64 v[22:23], v[188:189], v[160:161], -v[22:23]
	v_add_f64 v[188:189], v[26:27], v[16:17]
	v_add_f64 v[26:27], v[12:13], v[16:17]
	v_fma_f64 v[9:10], v[192:193], v[164:165], -v[9:10]
	v_add_f64 v[11:12], v[12:13], -v[16:17]
	v_fma_f64 v[20:21], v[194:195], v[164:165], v[20:21]
	v_fma_f64 v[24:25], v[190:191], v[160:161], v[24:25]
	v_fma_f64 v[26:27], v[26:27], -0.5, v[184:185]
	v_fma_f64 v[184:185], v[28:29], s[0:1], v[26:27]
	v_fma_f64 v[192:193], v[28:29], s[2:3], v[26:27]
	v_add_f64 v[26:27], v[186:187], v[14:15]
	v_add_f64 v[14:15], v[14:15], v[18:19]
	;; [unrolled: 1-line block ×3, first 2 shown]
	v_fma_f64 v[14:15], v[14:15], -0.5, v[186:187]
	ds_write_b128 v234, v[188:191]
	v_fma_f64 v[186:187], v[11:12], s[2:3], v[14:15]
	v_fma_f64 v[194:195], v[11:12], s[0:1], v[14:15]
	v_add_f64 v[11:12], v[180:181], v[0:1]
	v_add_f64 v[13:14], v[2:3], -v[6:7]
	v_add_f64 v[212:213], v[11:12], v[4:5]
	v_add_f64 v[11:12], v[0:1], v[4:5]
	v_add_f64 v[0:1], v[0:1], -v[4:5]
	v_add_f64 v[4:5], v[206:207], -v[210:211]
	v_fma_f64 v[11:12], v[11:12], -0.5, v[180:181]
	v_fma_f64 v[180:181], v[13:14], s[0:1], v[11:12]
	v_fma_f64 v[216:217], v[13:14], s[2:3], v[11:12]
	v_add_f64 v[11:12], v[182:183], v[2:3]
	v_add_f64 v[2:3], v[2:3], v[6:7]
	;; [unrolled: 1-line block ×3, first 2 shown]
	v_fma_f64 v[2:3], v[2:3], -0.5, v[182:183]
	v_add_f64 v[6:7], v[204:205], -v[208:209]
	v_fma_f64 v[182:183], v[0:1], s[2:3], v[2:3]
	v_fma_f64 v[218:219], v[0:1], s[0:1], v[2:3]
	v_add_f64 v[2:3], v[204:205], v[208:209]
	v_add_f64 v[0:1], v[176:177], v[204:205]
	v_fma_f64 v[2:3], v[2:3], -0.5, v[176:177]
	v_add_f64 v[0:1], v[0:1], v[208:209]
	v_fma_f64 v[176:177], v[4:5], s[0:1], v[2:3]
	v_fma_f64 v[220:221], v[4:5], s[2:3], v[2:3]
	v_add_f64 v[4:5], v[206:207], v[210:211]
	v_add_f64 v[2:3], v[178:179], v[206:207]
	v_fma_f64 v[4:5], v[4:5], -0.5, v[178:179]
	v_add_f64 v[2:3], v[2:3], v[210:211]
	v_fma_f64 v[178:179], v[6:7], s[2:3], v[4:5]
	v_fma_f64 v[222:223], v[6:7], s[0:1], v[4:5]
	v_add_f64 v[4:5], v[172:173], v[196:197]
	v_add_f64 v[6:7], v[198:199], -v[202:203]
	v_add_f64 v[204:205], v[4:5], v[200:201]
	v_add_f64 v[4:5], v[196:197], v[200:201]
	v_fma_f64 v[4:5], v[4:5], -0.5, v[172:173]
	v_fma_f64 v[208:209], v[6:7], s[0:1], v[4:5]
	v_fma_f64 v[224:225], v[6:7], s[2:3], v[4:5]
	v_add_f64 v[4:5], v[174:175], v[198:199]
	v_add_f64 v[6:7], v[196:197], -v[200:201]
	v_add_f64 v[206:207], v[4:5], v[202:203]
	v_add_f64 v[4:5], v[198:199], v[202:203]
	v_fma_f64 v[4:5], v[4:5], -0.5, v[174:175]
	;; [unrolled: 7-line block ×4, first 2 shown]
	v_fma_f64 v[170:171], v[6:7], s[2:3], v[4:5]
	v_fma_f64 v[174:175], v[6:7], s[0:1], v[4:5]
	v_lshl_add_u32 v6, v32, 4, v47
	ds_write_b128 v6, v[184:187] offset:1040
	ds_write_b128 v6, v[192:195] offset:2080
	;; [unrolled: 1-line block ×14, first 2 shown]
	s_waitcnt lgkmcnt(0)
	; wave barrier
	s_waitcnt lgkmcnt(0)
	global_load_dwordx4 v[176:179], v[232:233], off offset:3120
	ds_read_b128 v[0:3], v234
	s_waitcnt vmcnt(0) lgkmcnt(0)
	v_mul_f64 v[4:5], v[2:3], v[178:179]
	v_fma_f64 v[180:181], v[0:1], v[176:177], -v[4:5]
	v_mul_f64 v[0:1], v[0:1], v[178:179]
	v_fma_f64 v[182:183], v[2:3], v[176:177], v[0:1]
	global_load_dwordx4 v[176:179], v243, s[4:5] offset:240
	ds_read_b128 v[0:3], v234 offset:240
	ds_write_b128 v234, v[180:183]
	s_waitcnt vmcnt(0) lgkmcnt(1)
	v_mul_f64 v[4:5], v[2:3], v[178:179]
	v_fma_f64 v[180:181], v[0:1], v[176:177], -v[4:5]
	v_mul_f64 v[0:1], v[0:1], v[178:179]
	v_fma_f64 v[182:183], v[2:3], v[176:177], v[0:1]
	global_load_dwordx4 v[176:179], v243, s[4:5] offset:480
	ds_read_b128 v[0:3], v234 offset:480
	ds_write_b128 v234, v[180:183] offset:240
	s_waitcnt vmcnt(0) lgkmcnt(1)
	v_mul_f64 v[4:5], v[2:3], v[178:179]
	v_fma_f64 v[180:181], v[0:1], v[176:177], -v[4:5]
	v_mul_f64 v[0:1], v[0:1], v[178:179]
	v_fma_f64 v[182:183], v[2:3], v[176:177], v[0:1]
	global_load_dwordx4 v[176:179], v243, s[4:5] offset:720
	ds_read_b128 v[0:3], v234 offset:720
	ds_write_b128 v234, v[180:183] offset:480
	;; [unrolled: 8-line block ×11, first 2 shown]
	s_waitcnt vmcnt(0) lgkmcnt(1)
	v_mul_f64 v[4:5], v[2:3], v[178:179]
	v_fma_f64 v[180:181], v[0:1], v[176:177], -v[4:5]
	v_mul_f64 v[0:1], v[0:1], v[178:179]
	v_fma_f64 v[182:183], v[2:3], v[176:177], v[0:1]
	ds_write_b128 v234, v[180:183] offset:2880
	s_and_saveexec_b64 s[2:3], vcc
	s_cbranch_execz .LBB0_9
; %bb.8:
	v_add_co_u32_e64 v176, s[0:1], s4, v243
	v_mov_b32_e32 v0, s5
	v_addc_co_u32_e64 v177, s[0:1], 0, v0, s[0:1]
	global_load_dwordx4 v[178:181], v[176:177], off offset:208
	ds_read_b128 v[0:3], v6 offset:208
	s_waitcnt vmcnt(0) lgkmcnt(0)
	v_mul_f64 v[4:5], v[2:3], v[180:181]
	v_fma_f64 v[182:183], v[0:1], v[178:179], -v[4:5]
	v_mul_f64 v[0:1], v[0:1], v[180:181]
	v_fma_f64 v[184:185], v[2:3], v[178:179], v[0:1]
	global_load_dwordx4 v[178:181], v[176:177], off offset:448
	ds_write_b128 v6, v[182:185] offset:208
	ds_read_b128 v[0:3], v234 offset:448
	s_waitcnt vmcnt(0) lgkmcnt(0)
	v_mul_f64 v[4:5], v[2:3], v[180:181]
	v_fma_f64 v[182:183], v[0:1], v[178:179], -v[4:5]
	v_mul_f64 v[0:1], v[0:1], v[180:181]
	v_fma_f64 v[184:185], v[2:3], v[178:179], v[0:1]
	global_load_dwordx4 v[178:181], v[176:177], off offset:688
	ds_read_b128 v[0:3], v234 offset:688
	ds_write_b128 v234, v[182:185] offset:448
	s_waitcnt vmcnt(0) lgkmcnt(1)
	v_mul_f64 v[4:5], v[2:3], v[180:181]
	v_fma_f64 v[182:183], v[0:1], v[178:179], -v[4:5]
	v_mul_f64 v[0:1], v[0:1], v[180:181]
	v_fma_f64 v[184:185], v[2:3], v[178:179], v[0:1]
	global_load_dwordx4 v[178:181], v[176:177], off offset:928
	ds_read_b128 v[0:3], v234 offset:928
	ds_write_b128 v234, v[182:185] offset:688
	;; [unrolled: 8-line block ×11, first 2 shown]
	s_waitcnt vmcnt(0) lgkmcnt(1)
	v_mul_f64 v[4:5], v[2:3], v[178:179]
	v_fma_f64 v[180:181], v[0:1], v[176:177], -v[4:5]
	v_mul_f64 v[0:1], v[0:1], v[178:179]
	v_fma_f64 v[182:183], v[2:3], v[176:177], v[0:1]
	ds_write_b128 v234, v[180:183] offset:3088
.LBB0_9:
	s_or_b64 exec, exec, s[2:3]
	s_waitcnt lgkmcnt(0)
	; wave barrier
	s_waitcnt lgkmcnt(0)
	ds_read_b128 v[220:223], v234
	ds_read_b128 v[224:227], v234 offset:240
	ds_read_b128 v[212:215], v234 offset:480
	;; [unrolled: 1-line block ×12, first 2 shown]
	s_and_saveexec_b64 s[0:1], vcc
	s_cbranch_execz .LBB0_11
; %bb.10:
	ds_read_b128 v[168:171], v6 offset:208
	ds_read_b128 v[172:175], v6 offset:448
	;; [unrolled: 1-line block ×13, first 2 shown]
.LBB0_11:
	s_or_b64 exec, exec, s[0:1]
	s_waitcnt lgkmcnt(11)
	v_add_f64 v[0:1], v[220:221], v[224:225]
	v_add_f64 v[2:3], v[222:223], v[226:227]
	s_waitcnt lgkmcnt(0)
	v_add_f64 v[15:16], v[226:227], -v[230:231]
	s_mov_b32 s2, 0x4267c47c
	s_mov_b32 s3, 0xbfddbe06
	v_add_f64 v[9:10], v[224:225], v[228:229]
	s_mov_b32 s0, 0xe00740e9
	s_mov_b32 s1, 0x3fec55a7
	v_add_f64 v[0:1], v[0:1], v[212:213]
	v_add_f64 v[2:3], v[2:3], v[214:215]
	;; [unrolled: 1-line block ×3, first 2 shown]
	v_add_f64 v[13:14], v[224:225], -v[228:229]
	s_mov_b32 s12, 0x42a4c3d2
	s_mov_b32 s13, 0xbfea55e2
	s_mov_b32 s4, 0x1ea71119
	s_mov_b32 s23, 0x3fddbe06
	v_add_f64 v[0:1], v[0:1], v[204:205]
	v_add_f64 v[2:3], v[2:3], v[206:207]
	s_mov_b32 s22, s2
	s_mov_b32 s5, 0x3fe22d96
	s_mov_b32 s16, 0x66966769
	s_mov_b32 s17, 0xbfefc445
	s_mov_b32 s14, 0xebaa3ed8
	s_mov_b32 s37, 0x3fea55e2
	v_add_f64 v[0:1], v[0:1], v[196:197]
	v_add_f64 v[2:3], v[2:3], v[198:199]
	s_mov_b32 s36, s12
	s_mov_b32 s15, 0x3fbedb7d
	;; [unrolled: 8-line block ×4, first 2 shown]
	v_mul_f64 v[17:18], v[15:16], s[26:27]
	s_mov_b32 s24, 0xd0032e0c
	s_mov_b32 s30, 0x93053d00
	;; [unrolled: 1-line block ×3, first 2 shown]
	v_add_f64 v[0:1], v[0:1], v[184:185]
	v_add_f64 v[2:3], v[2:3], v[186:187]
	s_mov_b32 s31, 0xbfef11f4
	v_mul_f64 v[19:20], v[11:12], s[24:25]
	s_mov_b32 s41, 0x3fe5384d
	s_mov_b32 s40, s26
	;; [unrolled: 1-line block ×4, first 2 shown]
	v_add_f64 v[0:1], v[0:1], v[192:193]
	v_add_f64 v[2:3], v[2:3], v[194:195]
	v_add_f64 v[27:28], v[212:213], -v[216:217]
	v_fma_f64 v[21:22], v[13:14], s[40:41], v[19:20]
	v_fma_f64 v[19:20], v[13:14], s[26:27], v[19:20]
	v_add_f64 v[29:30], v[214:215], -v[218:219]
	v_add_u32_e32 v7, 0x340, v234
	buffer_store_dword v32, off, s[48:51], 0 ; 4-byte Folded Spill
	v_add_f64 v[0:1], v[0:1], v[200:201]
	v_add_f64 v[2:3], v[2:3], v[202:203]
	;; [unrolled: 1-line block ×4, first 2 shown]
	; wave barrier
	v_add_f64 v[0:1], v[0:1], v[208:209]
	v_add_f64 v[2:3], v[2:3], v[210:211]
	;; [unrolled: 1-line block ×5, first 2 shown]
	v_mul_f64 v[0:1], v[15:16], s[2:3]
	v_add_f64 v[178:179], v[2:3], v[230:231]
	v_fma_f64 v[2:3], v[9:10], s[0:1], v[0:1]
	v_fma_f64 v[0:1], v[9:10], s[0:1], -v[0:1]
	v_add_f64 v[235:236], v[220:221], v[2:3]
	v_mul_f64 v[2:3], v[11:12], s[0:1]
	v_add_f64 v[226:227], v[220:221], v[0:1]
	v_fma_f64 v[0:1], v[13:14], s[2:3], v[2:3]
	v_fma_f64 v[4:5], v[13:14], s[22:23], v[2:3]
	v_add_f64 v[228:229], v[222:223], v[0:1]
	v_mul_f64 v[0:1], v[15:16], s[12:13]
	v_add_f64 v[224:225], v[222:223], v[4:5]
	v_fma_f64 v[2:3], v[9:10], s[4:5], v[0:1]
	v_fma_f64 v[0:1], v[9:10], s[4:5], -v[0:1]
	v_add_f64 v[230:231], v[220:221], v[2:3]
	v_mul_f64 v[2:3], v[11:12], s[4:5]
	v_add_f64 v[245:246], v[220:221], v[0:1]
	v_fma_f64 v[0:1], v[13:14], s[12:13], v[2:3]
	v_fma_f64 v[4:5], v[13:14], s[36:37], v[2:3]
	v_add_f64 v[247:248], v[222:223], v[0:1]
	;; [unrolled: 10-line block ×3, first 2 shown]
	v_mul_f64 v[0:1], v[15:16], s[20:21]
	v_add_f64 v[237:238], v[222:223], v[4:5]
	v_mul_f64 v[15:16], v[15:16], s[34:35]
	v_fma_f64 v[2:3], v[9:10], s[18:19], v[0:1]
	v_fma_f64 v[0:1], v[9:10], s[18:19], -v[0:1]
	v_fma_f64 v[23:24], v[9:10], s[30:31], v[15:16]
	v_add_f64 v[249:250], v[220:221], v[2:3]
	v_mul_f64 v[2:3], v[11:12], s[18:19]
	v_mul_f64 v[11:12], v[11:12], s[30:31]
	v_add_f64 v[0:1], v[220:221], v[0:1]
	v_add_f64 v[23:24], v[220:221], v[23:24]
	v_fma_f64 v[4:5], v[13:14], s[38:39], v[2:3]
	v_fma_f64 v[2:3], v[13:14], s[20:21], v[2:3]
	;; [unrolled: 1-line block ×4, first 2 shown]
	v_add_f64 v[13:14], v[212:213], v[216:217]
	v_mul_f64 v[212:213], v[29:30], s[12:13]
	v_add_f64 v[253:254], v[222:223], v[4:5]
	v_fma_f64 v[4:5], v[9:10], s[24:25], v[17:18]
	v_fma_f64 v[17:18], v[9:10], s[24:25], -v[17:18]
	v_fma_f64 v[9:10], v[9:10], s[30:31], -v[15:16]
	v_add_f64 v[15:16], v[214:215], v[218:219]
	v_add_f64 v[2:3], v[222:223], v[2:3]
	;; [unrolled: 1-line block ×4, first 2 shown]
	v_fma_f64 v[214:215], v[13:14], s[4:5], v[212:213]
	v_add_f64 v[4:5], v[220:221], v[4:5]
	v_add_f64 v[17:18], v[220:221], v[17:18]
	;; [unrolled: 1-line block ×3, first 2 shown]
	v_mul_f64 v[216:217], v[15:16], s[4:5]
	v_mul_f64 v[220:221], v[29:30], s[20:21]
	v_fma_f64 v[212:213], v[13:14], s[4:5], -v[212:213]
	v_add_f64 v[214:215], v[214:215], v[235:236]
	v_mul_f64 v[235:236], v[15:16], s[30:31]
	v_fma_f64 v[218:219], v[27:28], s[36:37], v[216:217]
	v_fma_f64 v[216:217], v[27:28], s[12:13], v[216:217]
	;; [unrolled: 1-line block ×3, first 2 shown]
	v_add_f64 v[212:213], v[212:213], v[226:227]
	v_fma_f64 v[220:221], v[13:14], s[18:19], -v[220:221]
	v_add_f64 v[218:219], v[218:219], v[224:225]
	v_add_f64 v[216:217], v[216:217], v[228:229]
	v_mul_f64 v[224:225], v[15:16], s[18:19]
	v_mul_f64 v[228:229], v[29:30], s[34:35]
	v_add_f64 v[222:223], v[222:223], v[230:231]
	v_add_f64 v[220:221], v[220:221], v[245:246]
	v_fma_f64 v[226:227], v[27:28], s[38:39], v[224:225]
	v_fma_f64 v[230:231], v[13:14], s[30:31], v[228:229]
	v_fma_f64 v[228:229], v[13:14], s[30:31], -v[228:229]
	v_fma_f64 v[224:225], v[27:28], s[20:21], v[224:225]
	v_add_f64 v[226:227], v[226:227], v[243:244]
	v_fma_f64 v[243:244], v[27:28], s[42:43], v[235:236]
	v_add_f64 v[228:229], v[228:229], v[239:240]
	v_fma_f64 v[235:236], v[27:28], s[34:35], v[235:236]
	v_mul_f64 v[239:240], v[29:30], s[40:41]
	v_add_f64 v[224:225], v[224:225], v[247:248]
	v_add_f64 v[230:231], v[230:231], v[251:252]
	;; [unrolled: 1-line block ×3, first 2 shown]
	v_mul_f64 v[243:244], v[15:16], s[24:25]
	v_add_f64 v[235:236], v[235:236], v[241:242]
	v_fma_f64 v[241:242], v[13:14], s[24:25], v[239:240]
	v_fma_f64 v[239:240], v[13:14], s[24:25], -v[239:240]
	v_fma_f64 v[245:246], v[27:28], s[26:27], v[243:244]
	v_add_f64 v[241:242], v[241:242], v[249:250]
	v_add_f64 v[0:1], v[239:240], v[0:1]
	v_fma_f64 v[239:240], v[27:28], s[40:41], v[243:244]
	v_add_f64 v[245:246], v[245:246], v[253:254]
	v_add_f64 v[2:3], v[239:240], v[2:3]
	v_mul_f64 v[239:240], v[29:30], s[28:29]
	v_mul_f64 v[29:30], v[29:30], s[22:23]
	v_fma_f64 v[243:244], v[13:14], s[14:15], v[239:240]
	v_fma_f64 v[239:240], v[13:14], s[14:15], -v[239:240]
	v_add_f64 v[4:5], v[243:244], v[4:5]
	v_mul_f64 v[243:244], v[15:16], s[14:15]
	v_add_f64 v[17:18], v[239:240], v[17:18]
	v_mul_f64 v[15:16], v[15:16], s[0:1]
	v_fma_f64 v[239:240], v[27:28], s[28:29], v[243:244]
	v_fma_f64 v[247:248], v[27:28], s[16:17], v[243:244]
	v_add_f64 v[19:20], v[239:240], v[19:20]
	v_fma_f64 v[239:240], v[13:14], s[0:1], v[29:30]
	v_fma_f64 v[13:14], v[13:14], s[0:1], -v[29:30]
	v_add_f64 v[29:30], v[206:207], -v[210:211]
	v_add_f64 v[21:22], v[247:248], v[21:22]
	v_add_f64 v[23:24], v[239:240], v[23:24]
	v_add_f64 v[9:10], v[13:14], v[9:10]
	v_fma_f64 v[13:14], v[27:28], s[22:23], v[15:16]
	v_fma_f64 v[239:240], v[27:28], s[2:3], v[15:16]
	v_add_f64 v[15:16], v[206:207], v[210:211]
	v_add_f64 v[27:28], v[204:205], -v[208:209]
	v_add_f64 v[11:12], v[13:14], v[11:12]
	v_add_f64 v[13:14], v[204:205], v[208:209]
	v_mul_f64 v[204:205], v[29:30], s[16:17]
	v_mul_f64 v[208:209], v[15:16], s[14:15]
	v_add_f64 v[25:26], v[239:240], v[25:26]
	v_fma_f64 v[206:207], v[13:14], s[14:15], v[204:205]
	v_fma_f64 v[204:205], v[13:14], s[14:15], -v[204:205]
	v_fma_f64 v[210:211], v[27:28], s[28:29], v[208:209]
	v_fma_f64 v[208:209], v[27:28], s[16:17], v[208:209]
	v_add_f64 v[206:207], v[206:207], v[214:215]
	v_add_f64 v[204:205], v[204:205], v[212:213]
	v_mul_f64 v[212:213], v[29:30], s[34:35]
	v_add_f64 v[208:209], v[208:209], v[216:217]
	v_mul_f64 v[216:217], v[15:16], s[30:31]
	v_add_f64 v[210:211], v[210:211], v[218:219]
	v_fma_f64 v[214:215], v[13:14], s[30:31], v[212:213]
	v_fma_f64 v[212:213], v[13:14], s[30:31], -v[212:213]
	v_fma_f64 v[218:219], v[27:28], s[42:43], v[216:217]
	v_fma_f64 v[216:217], v[27:28], s[34:35], v[216:217]
	v_add_f64 v[214:215], v[214:215], v[222:223]
	v_add_f64 v[212:213], v[212:213], v[220:221]
	v_mul_f64 v[220:221], v[29:30], s[38:39]
	v_add_f64 v[216:217], v[216:217], v[224:225]
	v_mul_f64 v[224:225], v[15:16], s[18:19]
	v_add_f64 v[218:219], v[218:219], v[226:227]
	v_fma_f64 v[222:223], v[13:14], s[18:19], v[220:221]
	v_fma_f64 v[220:221], v[13:14], s[18:19], -v[220:221]
	v_fma_f64 v[226:227], v[27:28], s[20:21], v[224:225]
	v_fma_f64 v[224:225], v[27:28], s[38:39], v[224:225]
	v_add_f64 v[222:223], v[222:223], v[230:231]
	v_add_f64 v[220:221], v[220:221], v[228:229]
	v_mul_f64 v[228:229], v[29:30], s[22:23]
	v_add_f64 v[224:225], v[224:225], v[235:236]
	v_mul_f64 v[235:236], v[15:16], s[0:1]
	v_add_f64 v[226:227], v[226:227], v[237:238]
	v_fma_f64 v[230:231], v[13:14], s[0:1], v[228:229]
	v_fma_f64 v[228:229], v[13:14], s[0:1], -v[228:229]
	v_fma_f64 v[237:238], v[27:28], s[2:3], v[235:236]
	v_add_f64 v[230:231], v[230:231], v[241:242]
	v_add_f64 v[0:1], v[228:229], v[0:1]
	v_fma_f64 v[228:229], v[27:28], s[22:23], v[235:236]
	v_add_f64 v[237:238], v[237:238], v[245:246]
	v_add_f64 v[2:3], v[228:229], v[2:3]
	v_mul_f64 v[228:229], v[29:30], s[12:13]
	v_mul_f64 v[29:30], v[29:30], s[26:27]
	v_fma_f64 v[235:236], v[13:14], s[4:5], v[228:229]
	v_fma_f64 v[228:229], v[13:14], s[4:5], -v[228:229]
	v_add_f64 v[4:5], v[235:236], v[4:5]
	v_mul_f64 v[235:236], v[15:16], s[4:5]
	v_add_f64 v[17:18], v[228:229], v[17:18]
	v_mul_f64 v[15:16], v[15:16], s[24:25]
	v_fma_f64 v[228:229], v[27:28], s[12:13], v[235:236]
	v_fma_f64 v[239:240], v[27:28], s[36:37], v[235:236]
	v_add_f64 v[19:20], v[228:229], v[19:20]
	v_fma_f64 v[228:229], v[13:14], s[24:25], v[29:30]
	v_fma_f64 v[13:14], v[13:14], s[24:25], -v[29:30]
	v_add_f64 v[29:30], v[198:199], -v[202:203]
	v_add_f64 v[21:22], v[239:240], v[21:22]
	v_add_f64 v[23:24], v[228:229], v[23:24]
	v_add_f64 v[9:10], v[13:14], v[9:10]
	v_fma_f64 v[13:14], v[27:28], s[26:27], v[15:16]
	v_fma_f64 v[228:229], v[27:28], s[40:41], v[15:16]
	v_add_f64 v[15:16], v[198:199], v[202:203]
	v_add_f64 v[27:28], v[196:197], -v[200:201]
	v_add_f64 v[11:12], v[13:14], v[11:12]
	v_add_f64 v[13:14], v[196:197], v[200:201]
	v_mul_f64 v[196:197], v[29:30], s[20:21]
	v_mul_f64 v[200:201], v[15:16], s[18:19]
	v_add_f64 v[25:26], v[228:229], v[25:26]
	v_fma_f64 v[198:199], v[13:14], s[18:19], v[196:197]
	v_fma_f64 v[196:197], v[13:14], s[18:19], -v[196:197]
	v_fma_f64 v[202:203], v[27:28], s[38:39], v[200:201]
	v_fma_f64 v[200:201], v[27:28], s[20:21], v[200:201]
	v_add_f64 v[198:199], v[198:199], v[206:207]
	v_add_f64 v[196:197], v[196:197], v[204:205]
	v_mul_f64 v[204:205], v[29:30], s[40:41]
	v_add_f64 v[200:201], v[200:201], v[208:209]
	v_mul_f64 v[208:209], v[15:16], s[24:25]
	v_add_f64 v[202:203], v[202:203], v[210:211]
	v_fma_f64 v[206:207], v[13:14], s[24:25], v[204:205]
	v_fma_f64 v[204:205], v[13:14], s[24:25], -v[204:205]
	v_fma_f64 v[210:211], v[27:28], s[26:27], v[208:209]
	v_fma_f64 v[208:209], v[27:28], s[40:41], v[208:209]
	v_add_f64 v[206:207], v[206:207], v[214:215]
	v_add_f64 v[204:205], v[204:205], v[212:213]
	v_mul_f64 v[212:213], v[29:30], s[22:23]
	v_add_f64 v[208:209], v[208:209], v[216:217]
	v_mul_f64 v[216:217], v[15:16], s[0:1]
	v_add_f64 v[210:211], v[210:211], v[218:219]
	v_fma_f64 v[214:215], v[13:14], s[0:1], v[212:213]
	v_fma_f64 v[212:213], v[13:14], s[0:1], -v[212:213]
	v_fma_f64 v[218:219], v[27:28], s[2:3], v[216:217]
	v_fma_f64 v[216:217], v[27:28], s[22:23], v[216:217]
	v_add_f64 v[214:215], v[214:215], v[222:223]
	v_add_f64 v[212:213], v[212:213], v[220:221]
	v_mul_f64 v[220:221], v[29:30], s[16:17]
	v_add_f64 v[216:217], v[216:217], v[224:225]
	;; [unrolled: 64-line block ×3, first 2 shown]
	v_mul_f64 v[216:217], v[15:16], s[30:31]
	v_add_f64 v[210:211], v[210:211], v[218:219]
	v_fma_f64 v[214:215], v[13:14], s[30:31], v[212:213]
	v_fma_f64 v[212:213], v[13:14], s[30:31], -v[212:213]
	v_fma_f64 v[218:219], v[27:28], s[34:35], v[216:217]
	v_add_f64 v[214:215], v[214:215], v[222:223]
	v_add_f64 v[212:213], v[212:213], v[0:1]
	v_fma_f64 v[0:1], v[27:28], s[42:43], v[216:217]
	v_add_f64 v[218:219], v[218:219], v[226:227]
	v_add_f64 v[216:217], v[0:1], v[2:3]
	v_mul_f64 v[0:1], v[29:30], s[22:23]
	v_fma_f64 v[2:3], v[13:14], s[0:1], v[0:1]
	v_fma_f64 v[0:1], v[13:14], s[0:1], -v[0:1]
	v_add_f64 v[4:5], v[2:3], v[4:5]
	v_mul_f64 v[2:3], v[15:16], s[0:1]
	v_add_f64 v[17:18], v[0:1], v[17:18]
	v_fma_f64 v[0:1], v[27:28], s[22:23], v[2:3]
	v_fma_f64 v[220:221], v[27:28], s[2:3], v[2:3]
	v_add_f64 v[19:20], v[0:1], v[19:20]
	v_mul_f64 v[0:1], v[29:30], s[20:21]
	v_add_f64 v[29:30], v[182:183], -v[186:187]
	v_add_f64 v[21:22], v[220:221], v[21:22]
	v_fma_f64 v[2:3], v[13:14], s[18:19], v[0:1]
	v_fma_f64 v[0:1], v[13:14], s[18:19], -v[0:1]
	v_add_f64 v[13:14], v[180:181], v[184:185]
	v_add_f64 v[23:24], v[2:3], v[23:24]
	v_mul_f64 v[2:3], v[15:16], s[18:19]
	v_add_f64 v[9:10], v[0:1], v[9:10]
	v_fma_f64 v[15:16], v[27:28], s[38:39], v[2:3]
	v_fma_f64 v[0:1], v[27:28], s[20:21], v[2:3]
	v_add_f64 v[27:28], v[180:181], -v[184:185]
	v_mul_f64 v[180:181], v[29:30], s[34:35]
	v_add_f64 v[15:16], v[15:16], v[25:26]
	v_add_f64 v[11:12], v[0:1], v[11:12]
	;; [unrolled: 1-line block ×3, first 2 shown]
	v_fma_f64 v[0:1], v[13:14], s[30:31], v[180:181]
	v_fma_f64 v[180:181], v[13:14], s[30:31], -v[180:181]
	v_mul_f64 v[182:183], v[25:26], s[30:31]
	v_add_f64 v[0:1], v[0:1], v[190:191]
	v_add_f64 v[180:181], v[180:181], v[188:189]
	v_mul_f64 v[188:189], v[29:30], s[22:23]
	v_mul_f64 v[190:191], v[25:26], s[0:1]
	v_fma_f64 v[2:3], v[27:28], s[42:43], v[182:183]
	v_fma_f64 v[182:183], v[27:28], s[34:35], v[182:183]
	;; [unrolled: 1-line block ×3, first 2 shown]
	v_fma_f64 v[188:189], v[13:14], s[0:1], -v[188:189]
	v_fma_f64 v[186:187], v[27:28], s[2:3], v[190:191]
	v_fma_f64 v[190:191], v[27:28], s[22:23], v[190:191]
	v_add_f64 v[2:3], v[2:3], v[194:195]
	v_add_f64 v[182:183], v[182:183], v[192:193]
	;; [unrolled: 1-line block ×4, first 2 shown]
	v_mul_f64 v[196:197], v[29:30], s[26:27]
	v_add_f64 v[190:191], v[190:191], v[200:201]
	v_mul_f64 v[198:199], v[25:26], s[24:25]
	v_add_f64 v[186:187], v[186:187], v[202:203]
	v_fma_f64 v[192:193], v[13:14], s[24:25], v[196:197]
	v_fma_f64 v[196:197], v[13:14], s[24:25], -v[196:197]
	v_fma_f64 v[194:195], v[27:28], s[40:41], v[198:199]
	v_fma_f64 v[198:199], v[27:28], s[26:27], v[198:199]
	v_add_f64 v[192:193], v[192:193], v[206:207]
	v_add_f64 v[196:197], v[196:197], v[204:205]
	v_mul_f64 v[204:205], v[29:30], s[36:37]
	v_add_f64 v[198:199], v[198:199], v[208:209]
	v_add_f64 v[194:195], v[194:195], v[210:211]
	v_mul_f64 v[206:207], v[25:26], s[4:5]
	v_fma_f64 v[200:201], v[13:14], s[4:5], v[204:205]
	v_fma_f64 v[204:205], v[13:14], s[4:5], -v[204:205]
	v_fma_f64 v[202:203], v[27:28], s[12:13], v[206:207]
	v_fma_f64 v[206:207], v[27:28], s[36:37], v[206:207]
	v_add_f64 v[200:201], v[200:201], v[214:215]
	v_add_f64 v[204:205], v[204:205], v[212:213]
	v_mul_f64 v[212:213], v[29:30], s[20:21]
	v_add_f64 v[202:203], v[202:203], v[218:219]
	v_add_f64 v[206:207], v[206:207], v[216:217]
	v_fma_f64 v[208:209], v[13:14], s[18:19], v[212:213]
	v_add_f64 v[208:209], v[208:209], v[4:5]
	v_mul_f64 v[4:5], v[25:26], s[18:19]
	v_fma_f64 v[210:211], v[27:28], s[38:39], v[4:5]
	v_fma_f64 v[4:5], v[27:28], s[20:21], v[4:5]
	v_add_f64 v[210:211], v[210:211], v[21:22]
	v_fma_f64 v[21:22], v[13:14], s[18:19], -v[212:213]
	v_add_f64 v[214:215], v[4:5], v[19:20]
	v_mul_f64 v[4:5], v[29:30], s[28:29]
	v_add_f64 v[212:213], v[21:22], v[17:18]
	v_fma_f64 v[17:18], v[13:14], s[14:15], v[4:5]
	v_fma_f64 v[4:5], v[13:14], s[14:15], -v[4:5]
	v_add_f64 v[216:217], v[17:18], v[23:24]
	v_mul_f64 v[17:18], v[25:26], s[14:15]
	v_add_f64 v[220:221], v[4:5], v[9:10]
	v_fma_f64 v[19:20], v[27:28], s[16:17], v[17:18]
	v_fma_f64 v[4:5], v[27:28], s[28:29], v[17:18]
	v_add_f64 v[218:219], v[19:20], v[15:16]
	v_add_f64 v[222:223], v[4:5], v[11:12]
	ds_write_b128 v255, v[176:179]
	ds_write_b128 v255, v[0:3] offset:16
	ds_write_b128 v255, v[184:187] offset:32
	;; [unrolled: 1-line block ×12, first 2 shown]
	s_and_saveexec_b64 s[44:45], vcc
	s_cbranch_execz .LBB0_13
; %bb.12:
	v_add_f64 v[237:238], v[172:173], -v[56:57]
	v_add_f64 v[235:236], v[52:53], -v[60:61]
	v_add_f64 v[198:199], v[174:175], v[58:59]
	v_add_f64 v[220:221], v[174:175], -v[58:59]
	v_add_f64 v[212:213], v[64:65], -v[68:69]
	v_add_f64 v[196:197], v[54:55], v[62:63]
	v_add_f64 v[218:219], v[54:55], -v[62:63]
	v_add_f64 v[216:217], v[172:173], v[56:57]
	v_mul_f64 v[0:1], v[237:238], s[34:35]
	v_mul_f64 v[2:3], v[235:236], s[22:23]
	v_add_f64 v[208:209], v[72:73], -v[80:81]
	v_mul_f64 v[11:12], v[220:221], s[34:35]
	v_add_f64 v[194:195], v[66:67], v[70:71]
	v_mul_f64 v[9:10], v[212:213], s[26:27]
	v_add_f64 v[224:225], v[66:67], -v[70:71]
	v_add_f64 v[214:215], v[52:53], v[60:61]
	v_fma_f64 v[4:5], v[198:199], s[30:31], v[0:1]
	v_fma_f64 v[13:14], v[196:197], s[0:1], v[2:3]
	v_mul_f64 v[17:18], v[218:219], s[22:23]
	v_fma_f64 v[21:22], v[216:217], s[30:31], -v[11:12]
	v_add_f64 v[192:193], v[74:75], v[82:83]
	v_add_f64 v[228:229], v[74:75], -v[82:83]
	v_mul_f64 v[15:16], v[208:209], s[36:37]
	v_fma_f64 v[19:20], v[194:195], s[24:25], v[9:10]
	v_add_f64 v[4:5], v[170:171], v[4:5]
	v_add_f64 v[210:211], v[64:65], v[68:69]
	v_mul_f64 v[23:24], v[224:225], s[26:27]
	v_fma_f64 v[0:1], v[198:199], s[30:31], -v[0:1]
	v_fma_f64 v[27:28], v[214:215], s[0:1], -v[17:18]
	v_add_f64 v[21:22], v[168:169], v[21:22]
	v_add_f64 v[204:205], v[76:77], -v[84:85]
	v_add_f64 v[222:223], v[78:79], -v[86:87]
	v_add_f64 v[4:5], v[13:14], v[4:5]
	v_add_f64 v[202:203], v[72:73], v[80:81]
	v_fma_f64 v[25:26], v[192:193], s[4:5], v[15:16]
	v_mul_f64 v[29:30], v[228:229], s[36:37]
	v_fma_f64 v[2:3], v[196:197], s[0:1], -v[2:3]
	v_add_f64 v[0:1], v[170:171], v[0:1]
	v_fma_f64 v[178:179], v[210:211], s[24:25], -v[23:24]
	v_add_f64 v[21:22], v[27:28], v[21:22]
	v_add_f64 v[4:5], v[19:20], v[4:5]
	v_add_f64 v[200:201], v[88:89], -v[92:93]
	v_add_f64 v[190:191], v[78:79], v[86:87]
	v_add_f64 v[206:207], v[90:91], -v[94:95]
	v_mul_f64 v[13:14], v[204:205], s[20:21]
	v_add_f64 v[226:227], v[76:77], v[84:85]
	v_fma_f64 v[9:10], v[194:195], s[24:25], -v[9:10]
	v_fma_f64 v[11:12], v[216:217], s[30:31], v[11:12]
	v_add_f64 v[4:5], v[25:26], v[4:5]
	v_add_f64 v[0:1], v[2:3], v[0:1]
	v_mul_f64 v[2:3], v[222:223], s[20:21]
	v_fma_f64 v[25:26], v[202:203], s[4:5], -v[29:30]
	v_add_f64 v[21:22], v[178:179], v[21:22]
	v_add_f64 v[188:189], v[90:91], v[94:95]
	v_mul_f64 v[19:20], v[200:201], s[28:29]
	v_fma_f64 v[176:177], v[190:191], s[18:19], v[13:14]
	v_add_f64 v[230:231], v[88:89], v[92:93]
	v_fma_f64 v[15:16], v[192:193], s[4:5], -v[15:16]
	v_fma_f64 v[17:18], v[214:215], s[0:1], v[17:18]
	v_add_f64 v[11:12], v[168:169], v[11:12]
	v_add_f64 v[0:1], v[9:10], v[0:1]
	v_mul_f64 v[9:10], v[206:207], s[28:29]
	v_fma_f64 v[27:28], v[226:227], s[18:19], -v[2:3]
	v_add_f64 v[21:22], v[25:26], v[21:22]
	v_fma_f64 v[25:26], v[188:189], s[14:15], v[19:20]
	v_fma_f64 v[13:14], v[190:191], s[18:19], -v[13:14]
	v_fma_f64 v[23:24], v[210:211], s[24:25], v[23:24]
	v_add_f64 v[11:12], v[17:18], v[11:12]
	v_add_f64 v[0:1], v[15:16], v[0:1]
	;; [unrolled: 1-line block ×3, first 2 shown]
	v_fma_f64 v[15:16], v[230:231], s[14:15], -v[9:10]
	v_add_f64 v[17:18], v[27:28], v[21:22]
	v_mul_f64 v[27:28], v[237:238], s[26:27]
	v_fma_f64 v[19:20], v[188:189], s[14:15], -v[19:20]
	v_fma_f64 v[21:22], v[202:203], s[4:5], v[29:30]
	v_add_f64 v[11:12], v[23:24], v[11:12]
	v_add_f64 v[0:1], v[13:14], v[0:1]
	;; [unrolled: 1-line block ×3, first 2 shown]
	v_mul_f64 v[4:5], v[220:221], s[26:27]
	v_add_f64 v[176:177], v[15:16], v[17:18]
	v_mul_f64 v[13:14], v[235:236], s[28:29]
	v_fma_f64 v[15:16], v[198:199], s[24:25], v[27:28]
	v_fma_f64 v[2:3], v[226:227], s[18:19], v[2:3]
	v_add_f64 v[11:12], v[21:22], v[11:12]
	v_add_f64 v[182:183], v[19:20], v[0:1]
	v_mul_f64 v[0:1], v[218:219], s[28:29]
	v_fma_f64 v[17:18], v[216:217], s[24:25], -v[4:5]
	v_mul_f64 v[19:20], v[212:213], s[12:13]
	v_fma_f64 v[21:22], v[196:197], s[14:15], v[13:14]
	v_add_f64 v[15:16], v[170:171], v[15:16]
	v_mul_f64 v[25:26], v[208:209], s[42:43]
	v_add_f64 v[2:3], v[2:3], v[11:12]
	v_mul_f64 v[11:12], v[224:225], s[12:13]
	v_fma_f64 v[23:24], v[214:215], s[14:15], -v[0:1]
	v_add_f64 v[17:18], v[168:169], v[17:18]
	v_fma_f64 v[29:30], v[194:195], s[4:5], v[19:20]
	v_fma_f64 v[27:28], v[198:199], s[24:25], -v[27:28]
	v_add_f64 v[15:16], v[21:22], v[15:16]
	v_mul_f64 v[21:22], v[204:205], s[22:23]
	v_mul_f64 v[239:240], v[228:229], s[42:43]
	v_fma_f64 v[180:181], v[210:211], s[4:5], -v[11:12]
	v_fma_f64 v[13:14], v[196:197], s[14:15], -v[13:14]
	v_add_f64 v[17:18], v[23:24], v[17:18]
	v_fma_f64 v[23:24], v[192:193], s[30:31], v[25:26]
	v_add_f64 v[27:28], v[170:171], v[27:28]
	v_add_f64 v[15:16], v[29:30], v[15:16]
	v_mul_f64 v[29:30], v[200:201], s[20:21]
	v_mul_f64 v[241:242], v[222:223], s[22:23]
	v_fma_f64 v[184:185], v[202:203], s[30:31], -v[239:240]
	v_fma_f64 v[19:20], v[194:195], s[4:5], -v[19:20]
	v_add_f64 v[17:18], v[180:181], v[17:18]
	v_fma_f64 v[180:181], v[190:191], s[0:1], v[21:22]
	v_add_f64 v[13:14], v[13:14], v[27:28]
	v_add_f64 v[15:16], v[23:24], v[15:16]
	v_fma_f64 v[4:5], v[216:217], s[24:25], v[4:5]
	v_fma_f64 v[9:10], v[230:231], s[14:15], v[9:10]
	v_mul_f64 v[23:24], v[206:207], s[20:21]
	v_fma_f64 v[27:28], v[226:227], s[0:1], -v[241:242]
	v_add_f64 v[17:18], v[184:185], v[17:18]
	v_fma_f64 v[184:185], v[188:189], s[18:19], v[29:30]
	v_fma_f64 v[25:26], v[192:193], s[30:31], -v[25:26]
	v_add_f64 v[13:14], v[19:20], v[13:14]
	v_add_f64 v[15:16], v[180:181], v[15:16]
	v_fma_f64 v[0:1], v[214:215], s[14:15], v[0:1]
	v_add_f64 v[4:5], v[168:169], v[4:5]
	v_fma_f64 v[19:20], v[230:231], s[18:19], -v[23:24]
	v_add_f64 v[17:18], v[27:28], v[17:18]
	v_add_f64 v[180:181], v[9:10], v[2:3]
	v_fma_f64 v[2:3], v[190:191], s[0:1], -v[21:22]
	v_add_f64 v[9:10], v[25:26], v[13:14]
	v_add_f64 v[186:187], v[184:185], v[15:16]
	v_fma_f64 v[11:12], v[210:211], s[4:5], v[11:12]
	v_mul_f64 v[13:14], v[237:238], s[20:21]
	v_add_f64 v[0:1], v[0:1], v[4:5]
	v_mul_f64 v[15:16], v[220:221], s[20:21]
	v_add_f64 v[184:185], v[19:20], v[17:18]
	;; [unrolled: 2-line block ×3, first 2 shown]
	v_fma_f64 v[9:10], v[202:203], s[30:31], v[239:240]
	v_mul_f64 v[21:22], v[218:219], s[40:41]
	v_fma_f64 v[19:20], v[198:199], s[18:19], v[13:14]
	v_add_f64 v[0:1], v[11:12], v[0:1]
	v_fma_f64 v[11:12], v[230:231], s[18:19], v[23:24]
	v_fma_f64 v[23:24], v[216:217], s[18:19], -v[15:16]
	v_fma_f64 v[4:5], v[188:189], s[18:19], -v[29:30]
	v_mul_f64 v[27:28], v[212:213], s[22:23]
	v_fma_f64 v[29:30], v[196:197], s[24:25], v[17:18]
	v_fma_f64 v[239:240], v[214:215], s[24:25], -v[21:22]
	v_add_f64 v[19:20], v[170:171], v[19:20]
	v_add_f64 v[0:1], v[9:10], v[0:1]
	v_mul_f64 v[9:10], v[224:225], s[22:23]
	v_add_f64 v[23:24], v[168:169], v[23:24]
	v_fma_f64 v[25:26], v[226:227], s[0:1], v[241:242]
	v_mul_f64 v[241:242], v[208:209], s[16:17]
	v_fma_f64 v[13:14], v[198:199], s[18:19], -v[13:14]
	v_fma_f64 v[243:244], v[194:195], s[0:1], v[27:28]
	v_add_f64 v[19:20], v[29:30], v[19:20]
	v_mul_f64 v[245:246], v[228:229], s[16:17]
	v_fma_f64 v[247:248], v[210:211], s[0:1], -v[9:10]
	v_add_f64 v[23:24], v[239:240], v[23:24]
	v_mul_f64 v[29:30], v[204:205], s[42:43]
	v_fma_f64 v[17:18], v[196:197], s[24:25], -v[17:18]
	v_add_f64 v[13:14], v[170:171], v[13:14]
	v_fma_f64 v[239:240], v[192:193], s[14:15], v[241:242]
	v_add_f64 v[19:20], v[243:244], v[19:20]
	v_mul_f64 v[249:250], v[222:223], s[42:43]
	v_fma_f64 v[251:252], v[202:203], s[14:15], -v[245:246]
	v_add_f64 v[23:24], v[247:248], v[23:24]
	v_mul_f64 v[243:244], v[200:201], s[36:37]
	v_fma_f64 v[27:28], v[194:195], s[0:1], -v[27:28]
	v_add_f64 v[13:14], v[17:18], v[13:14]
	v_fma_f64 v[17:18], v[190:191], s[30:31], v[29:30]
	v_add_f64 v[19:20], v[239:240], v[19:20]
	v_add_f64 v[0:1], v[25:26], v[0:1]
	v_mul_f64 v[25:26], v[206:207], s[36:37]
	v_fma_f64 v[239:240], v[226:227], s[30:31], -v[249:250]
	v_add_f64 v[23:24], v[251:252], v[23:24]
	v_fma_f64 v[241:242], v[192:193], s[14:15], -v[241:242]
	v_add_f64 v[13:14], v[27:28], v[13:14]
	v_fma_f64 v[27:28], v[188:189], s[4:5], v[243:244]
	v_add_f64 v[17:18], v[17:18], v[19:20]
	v_add_f64 v[2:3], v[4:5], v[2:3]
	v_fma_f64 v[4:5], v[230:231], s[4:5], -v[25:26]
	v_fma_f64 v[15:16], v[216:217], s[18:19], v[15:16]
	v_add_f64 v[19:20], v[239:240], v[23:24]
	v_fma_f64 v[23:24], v[190:191], s[30:31], -v[29:30]
	v_add_f64 v[13:14], v[241:242], v[13:14]
	v_add_f64 v[0:1], v[11:12], v[0:1]
	;; [unrolled: 1-line block ×3, first 2 shown]
	v_fma_f64 v[11:12], v[214:215], s[24:25], v[21:22]
	v_mul_f64 v[17:18], v[237:238], s[16:17]
	v_add_f64 v[15:16], v[168:169], v[15:16]
	v_add_f64 v[239:240], v[4:5], v[19:20]
	v_mul_f64 v[19:20], v[220:221], s[16:17]
	v_fma_f64 v[4:5], v[188:189], s[4:5], -v[243:244]
	v_add_f64 v[13:14], v[23:24], v[13:14]
	v_fma_f64 v[9:10], v[210:211], s[0:1], v[9:10]
	v_mul_f64 v[21:22], v[235:236], s[34:35]
	v_fma_f64 v[23:24], v[198:199], s[14:15], v[17:18]
	v_add_f64 v[11:12], v[11:12], v[15:16]
	v_mul_f64 v[29:30], v[218:219], s[34:35]
	v_fma_f64 v[243:244], v[216:217], s[14:15], -v[19:20]
	v_fma_f64 v[15:16], v[230:231], s[4:5], v[25:26]
	v_fma_f64 v[25:26], v[202:203], s[14:15], v[245:246]
	v_mul_f64 v[27:28], v[212:213], s[38:39]
	v_fma_f64 v[245:246], v[196:197], s[30:31], v[21:22]
	v_add_f64 v[23:24], v[170:171], v[23:24]
	v_add_f64 v[9:10], v[9:10], v[11:12]
	v_fma_f64 v[11:12], v[226:227], s[30:31], v[249:250]
	v_mul_f64 v[251:252], v[224:225], s[38:39]
	v_fma_f64 v[249:250], v[214:215], s[30:31], -v[29:30]
	v_add_f64 v[243:244], v[168:169], v[243:244]
	v_mul_f64 v[247:248], v[208:209], s[22:23]
	v_fma_f64 v[253:254], v[194:195], s[18:19], v[27:28]
	v_add_f64 v[23:24], v[245:246], v[23:24]
	v_mov_b32_e32 v255, v31
	v_mul_f64 v[31:32], v[228:229], s[22:23]
	v_fma_f64 v[33:34], v[210:211], s[18:19], -v[251:252]
	v_fma_f64 v[17:18], v[198:199], s[14:15], -v[17:18]
	v_add_f64 v[243:244], v[249:250], v[243:244]
	v_add_f64 v[9:10], v[25:26], v[9:10]
	v_mul_f64 v[25:26], v[204:205], s[12:13]
	v_fma_f64 v[245:246], v[192:193], s[0:1], v[247:248]
	v_add_f64 v[23:24], v[253:254], v[23:24]
	v_mul_f64 v[35:36], v[222:223], s[12:13]
	v_fma_f64 v[37:38], v[202:203], s[0:1], -v[31:32]
	v_fma_f64 v[21:22], v[196:197], s[30:31], -v[21:22]
	v_add_f64 v[17:18], v[170:171], v[17:18]
	v_add_f64 v[33:34], v[33:34], v[243:244]
	v_mul_f64 v[253:254], v[200:201], s[26:27]
	v_fma_f64 v[243:244], v[190:191], s[4:5], v[25:26]
	v_add_f64 v[23:24], v[245:246], v[23:24]
	v_add_f64 v[9:10], v[11:12], v[9:10]
	v_mul_f64 v[11:12], v[206:207], s[26:27]
	v_fma_f64 v[249:250], v[226:227], s[4:5], -v[35:36]
	v_fma_f64 v[27:28], v[194:195], s[18:19], -v[27:28]
	v_add_f64 v[17:18], v[21:22], v[17:18]
	v_add_f64 v[21:22], v[37:38], v[33:34]
	v_fma_f64 v[33:34], v[188:189], s[24:25], v[253:254]
	v_add_f64 v[23:24], v[243:244], v[23:24]
	v_add_f64 v[245:246], v[4:5], v[13:14]
	v_fma_f64 v[4:5], v[230:231], s[24:25], -v[11:12]
	v_fma_f64 v[13:14], v[192:193], s[0:1], -v[247:248]
	v_fma_f64 v[19:20], v[216:217], s[14:15], v[19:20]
	v_add_f64 v[17:18], v[27:28], v[17:18]
	v_add_f64 v[21:22], v[249:250], v[21:22]
	;; [unrolled: 1-line block ×4, first 2 shown]
	v_fma_f64 v[9:10], v[190:191], s[4:5], -v[25:26]
	v_mul_f64 v[15:16], v[237:238], s[12:13]
	v_fma_f64 v[23:24], v[214:215], s[30:31], v[29:30]
	v_add_f64 v[19:20], v[168:169], v[19:20]
	v_add_f64 v[13:14], v[13:14], v[17:18]
	;; [unrolled: 1-line block ×3, first 2 shown]
	v_mul_f64 v[4:5], v[220:221], s[12:13]
	v_mul_f64 v[21:22], v[235:236], s[20:21]
	v_fma_f64 v[27:28], v[210:211], s[18:19], v[251:252]
	v_fma_f64 v[25:26], v[198:199], s[4:5], v[15:16]
	v_mul_f64 v[29:30], v[212:213], s[34:35]
	v_add_f64 v[19:20], v[23:24], v[19:20]
	v_add_f64 v[9:10], v[9:10], v[13:14]
	v_mul_f64 v[13:14], v[218:219], s[20:21]
	v_fma_f64 v[23:24], v[216:217], s[4:5], -v[4:5]
	v_fma_f64 v[33:34], v[196:197], s[18:19], v[21:22]
	v_fma_f64 v[31:32], v[202:203], s[0:1], v[31:32]
	v_add_f64 v[25:26], v[170:171], v[25:26]
	v_fma_f64 v[41:42], v[194:195], s[30:31], v[29:30]
	v_add_f64 v[19:20], v[27:28], v[19:20]
	v_mul_f64 v[27:28], v[224:225], s[34:35]
	v_fma_f64 v[37:38], v[214:215], s[18:19], -v[13:14]
	v_add_f64 v[23:24], v[168:169], v[23:24]
	v_fma_f64 v[17:18], v[188:189], s[24:25], -v[253:254]
	v_mul_f64 v[39:40], v[208:209], s[40:41]
	v_add_f64 v[25:26], v[33:34], v[25:26]
	v_fma_f64 v[33:34], v[226:227], s[4:5], v[35:36]
	v_add_f64 v[19:20], v[31:32], v[19:20]
	v_mul_f64 v[31:32], v[228:229], s[40:41]
	v_fma_f64 v[35:36], v[210:211], s[30:31], -v[27:28]
	v_add_f64 v[23:24], v[37:38], v[23:24]
	v_mul_f64 v[37:38], v[204:205], s[28:29]
	v_fma_f64 v[251:252], v[192:193], s[24:25], v[39:40]
	v_add_f64 v[25:26], v[41:42], v[25:26]
	v_fma_f64 v[11:12], v[230:231], s[24:25], v[11:12]
	v_add_f64 v[19:20], v[33:34], v[19:20]
	v_mul_f64 v[33:34], v[222:223], s[28:29]
	v_fma_f64 v[41:42], v[202:203], s[24:25], -v[31:32]
	v_add_f64 v[23:24], v[35:36], v[23:24]
	v_mul_f64 v[35:36], v[200:201], s[22:23]
	v_add_f64 v[253:254], v[17:18], v[9:10]
	v_fma_f64 v[9:10], v[198:199], s[4:5], -v[15:16]
	v_fma_f64 v[43:44], v[190:191], s[14:15], v[37:38]
	v_add_f64 v[25:26], v[251:252], v[25:26]
	v_fma_f64 v[17:18], v[226:227], s[14:15], -v[33:34]
	v_add_f64 v[251:252], v[11:12], v[19:20]
	v_add_f64 v[23:24], v[41:42], v[23:24]
	v_fma_f64 v[11:12], v[188:189], s[0:1], v[35:36]
	v_fma_f64 v[21:22], v[196:197], s[18:19], -v[21:22]
	v_add_f64 v[9:10], v[170:171], v[9:10]
	v_fma_f64 v[4:5], v[216:217], s[4:5], v[4:5]
	v_add_f64 v[19:20], v[43:44], v[25:26]
	v_fma_f64 v[29:30], v[194:195], s[30:31], -v[29:30]
	v_fma_f64 v[13:14], v[214:215], s[18:19], v[13:14]
	v_add_f64 v[17:18], v[17:18], v[23:24]
	v_fma_f64 v[23:24], v[188:189], s[0:1], -v[35:36]
	v_mul_f64 v[35:36], v[237:238], s[2:3]
	v_add_f64 v[9:10], v[21:22], v[9:10]
	v_add_f64 v[4:5], v[168:169], v[4:5]
	v_fma_f64 v[21:22], v[192:193], s[24:25], -v[39:40]
	v_mul_f64 v[39:40], v[235:236], s[12:13]
	v_add_f64 v[43:44], v[170:171], v[174:175]
	v_add_f64 v[45:46], v[168:169], v[172:173]
	v_fma_f64 v[27:28], v[210:211], s[30:31], v[27:28]
	v_fma_f64 v[41:42], v[198:199], s[0:1], v[35:36]
	v_add_f64 v[9:10], v[29:30], v[9:10]
	v_add_f64 v[4:5], v[13:14], v[4:5]
	v_mul_f64 v[13:14], v[212:213], s[16:17]
	v_fma_f64 v[29:30], v[196:197], s[4:5], v[39:40]
	v_add_f64 v[43:44], v[43:44], v[54:55]
	v_add_f64 v[45:46], v[45:46], v[52:53]
	v_fma_f64 v[37:38], v[190:191], s[14:15], -v[37:38]
	v_add_f64 v[41:42], v[170:171], v[41:42]
	v_add_f64 v[9:10], v[21:22], v[9:10]
	v_fma_f64 v[21:22], v[202:203], s[24:25], v[31:32]
	v_add_f64 v[4:5], v[27:28], v[4:5]
	v_fma_f64 v[31:32], v[194:195], s[14:15], v[13:14]
	v_mul_f64 v[27:28], v[208:209], s[20:21]
	v_fma_f64 v[33:34], v[226:227], s[14:15], v[33:34]
	v_fma_f64 v[35:36], v[198:199], s[0:1], -v[35:36]
	v_add_f64 v[29:30], v[29:30], v[41:42]
	v_add_f64 v[41:42], v[43:44], v[66:67]
	;; [unrolled: 1-line block ×5, first 2 shown]
	v_fma_f64 v[37:38], v[192:193], s[18:19], v[27:28]
	v_mul_f64 v[52:53], v[218:219], s[12:13]
	v_mul_f64 v[66:67], v[224:225], s[16:17]
	v_add_f64 v[29:30], v[31:32], v[29:30]
	v_add_f64 v[31:32], v[41:42], v[74:75]
	;; [unrolled: 1-line block ×4, first 2 shown]
	v_fma_f64 v[39:40], v[196:197], s[4:5], -v[39:40]
	v_add_f64 v[35:36], v[170:171], v[35:36]
	v_fma_f64 v[72:73], v[214:215], s[4:5], v[52:53]
	v_fma_f64 v[52:53], v[214:215], s[4:5], -v[52:53]
	v_add_f64 v[29:30], v[37:38], v[29:30]
	v_add_f64 v[31:32], v[31:32], v[78:79]
	;; [unrolled: 1-line block ×3, first 2 shown]
	v_mul_f64 v[37:38], v[220:221], s[2:3]
	v_mul_f64 v[45:46], v[228:229], s[20:21]
	v_fma_f64 v[13:14], v[194:195], s[14:15], -v[13:14]
	v_add_f64 v[35:36], v[39:40], v[35:36]
	v_fma_f64 v[39:40], v[210:211], s[14:15], v[66:67]
	v_fma_f64 v[66:67], v[210:211], s[14:15], -v[66:67]
	v_add_f64 v[31:32], v[31:32], v[90:91]
	v_add_f64 v[33:34], v[33:34], v[88:89]
	v_fma_f64 v[64:65], v[216:217], s[0:1], v[37:38]
	v_fma_f64 v[37:38], v[216:217], s[0:1], -v[37:38]
	v_mul_f64 v[15:16], v[206:207], s[22:23]
	v_mul_f64 v[21:22], v[204:205], s[26:27]
	;; [unrolled: 1-line block ×3, first 2 shown]
	v_fma_f64 v[27:28], v[192:193], s[18:19], -v[27:28]
	v_add_f64 v[31:32], v[31:32], v[94:95]
	v_add_f64 v[33:34], v[33:34], v[92:93]
	;; [unrolled: 1-line block ×5, first 2 shown]
	v_fma_f64 v[35:36], v[202:203], s[18:19], v[45:46]
	v_fma_f64 v[45:46], v[202:203], s[18:19], -v[45:46]
	v_fma_f64 v[25:26], v[230:231], s[0:1], -v[15:16]
	v_add_f64 v[31:32], v[31:32], v[86:87]
	v_add_f64 v[33:34], v[33:34], v[84:85]
	;; [unrolled: 1-line block ×5, first 2 shown]
	v_fma_f64 v[9:10], v[230:231], s[0:1], v[15:16]
	v_mul_f64 v[15:16], v[200:201], s[34:35]
	v_fma_f64 v[23:24], v[190:191], s[24:25], v[21:22]
	v_add_f64 v[31:32], v[31:32], v[82:83]
	v_add_f64 v[33:34], v[33:34], v[80:81]
	;; [unrolled: 1-line block ×4, first 2 shown]
	v_mul_f64 v[41:42], v[206:207], s[34:35]
	v_fma_f64 v[21:22], v[190:191], s[24:25], -v[21:22]
	v_add_f64 v[13:14], v[27:28], v[13:14]
	v_fma_f64 v[27:28], v[226:227], s[24:25], v[43:44]
	v_add_f64 v[31:32], v[31:32], v[70:71]
	v_add_f64 v[33:34], v[33:34], v[68:69]
	;; [unrolled: 1-line block ×3, first 2 shown]
	v_fma_f64 v[39:40], v[226:227], s[24:25], -v[43:44]
	v_add_f64 v[37:38], v[45:46], v[37:38]
	v_fma_f64 v[43:44], v[188:189], s[30:31], -v[15:16]
	v_add_f64 v[13:14], v[21:22], v[13:14]
	v_fma_f64 v[21:22], v[230:231], s[30:31], v[41:42]
	v_add_f64 v[31:32], v[31:32], v[62:63]
	v_add_f64 v[33:34], v[33:34], v[60:61]
	;; [unrolled: 1-line block ×3, first 2 shown]
	v_fma_f64 v[15:16], v[188:189], s[30:31], v[15:16]
	v_add_f64 v[23:24], v[23:24], v[29:30]
	v_fma_f64 v[29:30], v[230:231], s[30:31], -v[41:42]
	v_add_f64 v[35:36], v[39:40], v[37:38]
	v_add_f64 v[60:61], v[43:44], v[13:14]
	v_add_f64 v[64:65], v[31:32], v[58:59]
	v_add_f64 v[62:63], v[33:34], v[56:57]
	v_add_f64 v[58:59], v[21:22], v[27:28]
	v_add_f64 v[52:53], v[9:10], v[4:5]
	v_lshl_add_u32 v4, v255, 4, v47
	v_add_f64 v[68:69], v[11:12], v[19:20]
	v_add_f64 v[66:67], v[25:26], v[17:18]
	;; [unrolled: 1-line block ×4, first 2 shown]
	ds_write_b128 v4, v[62:65]
	ds_write_b128 v4, v[58:61] offset:16
	ds_write_b128 v4, v[52:55] offset:32
	ds_write_b128 v4, v[251:254] offset:48
	ds_write_b128 v4, v[243:246] offset:64
	ds_write_b128 v4, v[0:3] offset:80
	ds_write_b128 v4, v[180:183] offset:96
	ds_write_b128 v4, v[176:179] offset:112
	ds_write_b128 v4, v[184:187] offset:128
	ds_write_b128 v4, v[239:242] offset:144
	ds_write_b128 v4, v[247:250] offset:160
	ds_write_b128 v4, v[66:69] offset:176
	ds_write_b128 v4, v[70:73] offset:192
.LBB0_13:
	s_or_b64 exec, exec, s[44:45]
	s_waitcnt lgkmcnt(0)
	; wave barrier
	s_waitcnt lgkmcnt(0)
	ds_read_b128 v[0:3], v234
	ds_read_b128 v[52:55], v234 offset:208
	ds_read_b128 v[56:59], v234 offset:1248
	;; [unrolled: 1-line block ×11, first 2 shown]
	s_waitcnt lgkmcnt(5)
	v_mul_f64 v[4:5], v[110:111], v[74:75]
	v_mul_f64 v[11:12], v[106:107], v[58:59]
	;; [unrolled: 1-line block ×3, first 2 shown]
	s_waitcnt lgkmcnt(1)
	v_mul_f64 v[15:16], v[102:103], v[90:91]
	v_mul_f64 v[13:14], v[106:107], v[56:57]
	;; [unrolled: 1-line block ×5, first 2 shown]
	v_fma_f64 v[4:5], v[108:109], v[72:73], v[4:5]
	v_fma_f64 v[11:12], v[104:105], v[56:57], v[11:12]
	v_fma_f64 v[9:10], v[108:109], v[74:75], -v[9:10]
	v_fma_f64 v[15:16], v[100:101], v[88:89], v[15:16]
	v_fma_f64 v[13:14], v[104:105], v[58:59], -v[13:14]
	v_fma_f64 v[21:22], v[96:97], v[66:67], -v[21:22]
	v_mul_f64 v[27:28], v[106:107], v[62:63]
	v_mul_f64 v[29:30], v[106:107], v[60:61]
	v_add_f64 v[45:46], v[0:1], v[4:5]
	ds_read_b128 v[168:171], v234 offset:2080
	ds_read_b128 v[172:175], v234 offset:2288
	;; [unrolled: 1-line block ×3, first 2 shown]
	v_fma_f64 v[17:18], v[100:101], v[90:91], -v[17:18]
	v_add_f64 v[58:59], v[11:12], v[15:16]
	v_fma_f64 v[19:20], v[96:97], v[64:65], v[19:20]
	v_mul_f64 v[35:36], v[98:99], v[70:71]
	v_mul_f64 v[37:38], v[98:99], v[68:69]
	v_fma_f64 v[27:28], v[104:105], v[60:61], v[27:28]
	v_fma_f64 v[29:30], v[104:105], v[62:63], -v[29:30]
	s_waitcnt lgkmcnt(3)
	v_mul_f64 v[56:57], v[122:123], v[92:93]
	s_waitcnt lgkmcnt(1)
	v_mul_f64 v[60:61], v[118:119], v[174:175]
	v_mul_f64 v[62:63], v[118:119], v[172:173]
	v_add_f64 v[45:46], v[45:46], v[11:12]
	v_fma_f64 v[58:59], v[58:59], -0.5, v[0:1]
	v_add_f64 v[64:65], v[9:10], -v[21:22]
	s_mov_b32 s0, 0x134454ff
	s_mov_b32 s1, 0xbfee6f0e
	v_mul_f64 v[31:32], v[102:103], v[170:171]
	v_mul_f64 v[33:34], v[102:103], v[168:169]
	v_fma_f64 v[35:36], v[96:97], v[68:69], v[35:36]
	v_fma_f64 v[37:38], v[96:97], v[70:71], -v[37:38]
	v_mul_f64 v[43:44], v[122:123], v[94:95]
	v_fma_f64 v[94:95], v[120:121], v[94:95], -v[56:57]
	v_fma_f64 v[96:97], v[116:117], v[172:173], v[60:61]
	v_fma_f64 v[98:99], v[116:117], v[174:175], -v[62:63]
	s_waitcnt lgkmcnt(0)
	v_mul_f64 v[56:57], v[114:115], v[178:179]
	v_mul_f64 v[60:61], v[114:115], v[176:177]
	v_add_f64 v[45:46], v[45:46], v[15:16]
	v_fma_f64 v[62:63], v[64:65], s[0:1], v[58:59]
	v_add_f64 v[66:67], v[13:14], -v[17:18]
	v_add_f64 v[68:69], v[4:5], v[19:20]
	v_add_f64 v[70:71], v[4:5], -v[11:12]
	v_add_f64 v[72:73], v[19:20], -v[15:16]
	s_mov_b32 s2, 0x4755a5e
	s_mov_b32 s3, 0xbfe2cf23
	s_mov_b32 s5, 0x3fee6f0e
	s_mov_b32 s4, s0
	v_fma_f64 v[31:32], v[100:101], v[168:169], v[31:32]
	v_fma_f64 v[33:34], v[100:101], v[170:171], -v[33:34]
	v_fma_f64 v[100:101], v[112:113], v[176:177], v[56:57]
	v_fma_f64 v[102:103], v[112:113], v[178:179], -v[60:61]
	v_add_f64 v[56:57], v[45:46], v[19:20]
	v_fma_f64 v[0:1], v[68:69], -0.5, v[0:1]
	v_fma_f64 v[45:46], v[66:67], s[2:3], v[62:63]
	v_add_f64 v[60:61], v[70:71], v[72:73]
	v_add_f64 v[62:63], v[2:3], v[9:10]
	v_fma_f64 v[58:59], v[64:65], s[4:5], v[58:59]
	v_add_f64 v[72:73], v[11:12], -v[4:5]
	v_add_f64 v[74:75], v[15:16], -v[19:20]
	v_mul_f64 v[23:24], v[110:111], v[82:83]
	v_add_f64 v[68:69], v[13:14], v[17:18]
	s_mov_b32 s13, 0x3fe2cf23
	s_mov_b32 s12, s2
	v_fma_f64 v[70:71], v[66:67], s[4:5], v[0:1]
	v_fma_f64 v[0:1], v[66:67], s[0:1], v[0:1]
	v_add_f64 v[62:63], v[62:63], v[13:14]
	v_add_f64 v[4:5], v[4:5], -v[19:20]
	v_fma_f64 v[19:20], v[66:67], s[12:13], v[58:59]
	v_add_f64 v[66:67], v[72:73], v[74:75]
	v_add_f64 v[72:73], v[9:10], v[21:22]
	v_mul_f64 v[25:26], v[110:111], v[80:81]
	v_fma_f64 v[23:24], v[108:109], v[80:81], v[23:24]
	v_fma_f64 v[80:81], v[68:69], -0.5, v[2:3]
	v_fma_f64 v[58:59], v[64:65], s[2:3], v[70:71]
	v_fma_f64 v[68:69], v[64:65], s[12:13], v[0:1]
	v_add_f64 v[62:63], v[62:63], v[17:18]
	v_add_f64 v[11:12], v[11:12], -v[15:16]
	v_fma_f64 v[2:3], v[72:73], -0.5, v[2:3]
	s_mov_b32 s14, 0x372fe950
	s_mov_b32 s15, 0x3fd3c6ef
	v_fma_f64 v[70:71], v[4:5], s[4:5], v[80:81]
	v_fma_f64 v[0:1], v[60:61], s[14:15], v[45:46]
	;; [unrolled: 1-line block ×5, first 2 shown]
	v_add_f64 v[58:59], v[62:63], v[21:22]
	v_add_f64 v[19:20], v[9:10], -v[13:14]
	v_add_f64 v[45:46], v[21:22], -v[17:18]
	v_add_f64 v[62:63], v[52:53], v[23:24]
	v_fma_f64 v[66:67], v[4:5], s[0:1], v[80:81]
	v_fma_f64 v[72:73], v[11:12], s[0:1], v[2:3]
	v_add_f64 v[9:10], v[13:14], -v[9:10]
	v_add_f64 v[13:14], v[17:18], -v[21:22]
	v_fma_f64 v[2:3], v[11:12], s[4:5], v[2:3]
	v_fma_f64 v[25:26], v[108:109], v[82:83], -v[25:26]
	v_fma_f64 v[15:16], v[11:12], s[12:13], v[70:71]
	v_add_f64 v[70:71], v[27:28], v[31:32]
	v_add_f64 v[17:18], v[19:20], v[45:46]
	;; [unrolled: 1-line block ×3, first 2 shown]
	v_fma_f64 v[11:12], v[11:12], s[2:3], v[66:67]
	v_fma_f64 v[66:67], v[4:5], s[12:13], v[72:73]
	v_add_f64 v[9:10], v[9:10], v[13:14]
	v_fma_f64 v[4:5], v[4:5], s[2:3], v[2:3]
	v_add_f64 v[13:14], v[23:24], v[35:36]
	v_fma_f64 v[21:22], v[70:71], -0.5, v[52:53]
	v_add_f64 v[45:46], v[25:26], -v[37:38]
	v_add_f64 v[19:20], v[19:20], v[31:32]
	v_fma_f64 v[2:3], v[17:18], s[14:15], v[15:16]
	v_add_f64 v[15:16], v[29:30], -v[33:34]
	v_fma_f64 v[62:63], v[17:18], s[14:15], v[11:12]
	v_fma_f64 v[70:71], v[9:10], s[14:15], v[4:5]
	v_fma_f64 v[4:5], v[13:14], -0.5, v[52:53]
	v_fma_f64 v[66:67], v[9:10], s[14:15], v[66:67]
	v_fma_f64 v[11:12], v[45:46], s[0:1], v[21:22]
	v_add_f64 v[9:10], v[23:24], -v[27:28]
	v_add_f64 v[13:14], v[35:36], -v[31:32]
	v_add_f64 v[52:53], v[19:20], v[35:36]
	v_fma_f64 v[17:18], v[45:46], s[4:5], v[21:22]
	v_add_f64 v[19:20], v[54:55], v[25:26]
	v_add_f64 v[21:22], v[29:30], v[33:34]
	v_fma_f64 v[72:73], v[15:16], s[4:5], v[4:5]
	v_add_f64 v[74:75], v[27:28], -v[23:24]
	v_add_f64 v[80:81], v[31:32], -v[35:36]
	v_fma_f64 v[11:12], v[15:16], s[2:3], v[11:12]
	v_add_f64 v[9:10], v[9:10], v[13:14]
	v_fma_f64 v[4:5], v[15:16], s[0:1], v[4:5]
	v_mul_f64 v[39:40], v[126:127], v[86:87]
	v_mul_f64 v[41:42], v[126:127], v[84:85]
	v_fma_f64 v[43:44], v[120:121], v[92:93], v[43:44]
	v_fma_f64 v[13:14], v[15:16], s[12:13], v[17:18]
	v_add_f64 v[15:16], v[19:20], v[29:30]
	v_fma_f64 v[17:18], v[21:22], -0.5, v[54:55]
	v_add_f64 v[19:20], v[23:24], -v[35:36]
	v_fma_f64 v[21:22], v[45:46], s[2:3], v[72:73]
	v_add_f64 v[23:24], v[74:75], v[80:81]
	v_fma_f64 v[72:73], v[9:10], s[14:15], v[11:12]
	v_fma_f64 v[4:5], v[45:46], s[12:13], v[4:5]
	v_add_f64 v[11:12], v[25:26], v[37:38]
	v_fma_f64 v[39:40], v[124:125], v[84:85], v[39:40]
	v_fma_f64 v[41:42], v[124:125], v[86:87], -v[41:42]
	v_fma_f64 v[80:81], v[9:10], s[14:15], v[13:14]
	v_add_f64 v[9:10], v[15:16], v[33:34]
	v_fma_f64 v[13:14], v[19:20], s[4:5], v[17:18]
	v_add_f64 v[15:16], v[27:28], -v[31:32]
	v_fma_f64 v[84:85], v[23:24], s[14:15], v[21:22]
	v_add_f64 v[21:22], v[43:44], v[96:97]
	v_add_f64 v[27:28], v[25:26], -v[29:30]
	v_add_f64 v[31:32], v[37:38], -v[33:34]
	v_fma_f64 v[88:89], v[23:24], s[14:15], v[4:5]
	v_fma_f64 v[4:5], v[11:12], -0.5, v[54:55]
	v_add_f64 v[54:55], v[9:10], v[37:38]
	v_fma_f64 v[9:10], v[15:16], s[12:13], v[13:14]
	v_add_f64 v[11:12], v[76:77], v[39:40]
	v_fma_f64 v[13:14], v[21:22], -0.5, v[76:77]
	v_add_f64 v[21:22], v[41:42], -v[102:103]
	v_add_f64 v[23:24], v[27:28], v[31:32]
	v_fma_f64 v[17:18], v[19:20], s[0:1], v[17:18]
	v_fma_f64 v[27:28], v[15:16], s[0:1], v[4:5]
	v_add_f64 v[25:26], v[29:30], -v[25:26]
	v_add_f64 v[29:30], v[33:34], -v[37:38]
	v_fma_f64 v[4:5], v[15:16], s[4:5], v[4:5]
	v_add_f64 v[33:34], v[94:95], -v[98:99]
	v_fma_f64 v[31:32], v[21:22], s[0:1], v[13:14]
	v_add_f64 v[35:36], v[39:40], -v[43:44]
	v_add_f64 v[37:38], v[100:101], -v[96:97]
	v_add_f64 v[11:12], v[11:12], v[43:44]
	v_fma_f64 v[15:16], v[15:16], s[2:3], v[17:18]
	v_add_f64 v[17:18], v[39:40], v[100:101]
	v_add_f64 v[25:26], v[25:26], v[29:30]
	v_fma_f64 v[4:5], v[19:20], s[2:3], v[4:5]
	v_fma_f64 v[27:28], v[19:20], s[12:13], v[27:28]
	;; [unrolled: 1-line block ×3, first 2 shown]
	v_add_f64 v[29:30], v[35:36], v[37:38]
	v_add_f64 v[11:12], v[11:12], v[96:97]
	v_fma_f64 v[74:75], v[23:24], s[14:15], v[9:10]
	v_fma_f64 v[9:10], v[17:18], -0.5, v[76:77]
	v_add_f64 v[17:18], v[41:42], v[102:103]
	v_fma_f64 v[90:91], v[25:26], s[14:15], v[4:5]
	v_add_f64 v[4:5], v[94:95], v[98:99]
	v_fma_f64 v[82:83], v[23:24], s[14:15], v[15:16]
	v_fma_f64 v[92:93], v[29:30], s[14:15], v[19:20]
	v_add_f64 v[15:16], v[43:44], -v[39:40]
	v_add_f64 v[19:20], v[96:97], -v[100:101]
	v_add_f64 v[23:24], v[78:79], v[41:42]
	v_fma_f64 v[86:87], v[25:26], s[14:15], v[27:28]
	v_add_f64 v[76:77], v[11:12], v[100:101]
	v_fma_f64 v[11:12], v[21:22], s[4:5], v[13:14]
	v_fma_f64 v[4:5], v[4:5], -0.5, v[78:79]
	v_add_f64 v[25:26], v[39:40], -v[100:101]
	v_add_f64 v[27:28], v[43:44], -v[96:97]
	v_fma_f64 v[17:18], v[17:18], -0.5, v[78:79]
	v_add_f64 v[15:16], v[15:16], v[19:20]
	v_add_f64 v[19:20], v[23:24], v[94:95]
	v_fma_f64 v[13:14], v[33:34], s[4:5], v[9:10]
	v_fma_f64 v[11:12], v[33:34], s[12:13], v[11:12]
	v_fma_f64 v[9:10], v[33:34], s[0:1], v[9:10]
	v_fma_f64 v[23:24], v[25:26], s[4:5], v[4:5]
	v_add_f64 v[31:32], v[41:42], -v[94:95]
	v_add_f64 v[33:34], v[102:103], -v[98:99]
	v_fma_f64 v[4:5], v[25:26], s[0:1], v[4:5]
	v_fma_f64 v[35:36], v[27:28], s[0:1], v[17:18]
	v_add_f64 v[37:38], v[94:95], -v[41:42]
	v_add_f64 v[39:40], v[98:99], -v[102:103]
	v_fma_f64 v[17:18], v[27:28], s[4:5], v[17:18]
	v_add_f64 v[19:20], v[19:20], v[98:99]
	v_fma_f64 v[13:14], v[21:22], s[2:3], v[13:14]
	v_fma_f64 v[9:10], v[21:22], s[12:13], v[9:10]
	;; [unrolled: 1-line block ×3, first 2 shown]
	v_add_f64 v[23:24], v[31:32], v[33:34]
	v_fma_f64 v[4:5], v[27:28], s[2:3], v[4:5]
	v_fma_f64 v[27:28], v[25:26], s[12:13], v[35:36]
	v_add_f64 v[31:32], v[37:38], v[39:40]
	v_fma_f64 v[17:18], v[25:26], s[2:3], v[17:18]
	v_add_f64 v[78:79], v[19:20], v[102:103]
	v_fma_f64 v[96:97], v[29:30], s[14:15], v[11:12]
	v_fma_f64 v[100:101], v[15:16], s[14:15], v[13:14]
	;; [unrolled: 1-line block ×7, first 2 shown]
	s_waitcnt lgkmcnt(0)
	; wave barrier
	ds_write_b128 v234, v[56:59]
	ds_write_b128 v234, v[0:3] offset:208
	ds_write_b128 v234, v[64:67] offset:416
	;; [unrolled: 1-line block ×14, first 2 shown]
	s_waitcnt lgkmcnt(0)
	; wave barrier
	s_waitcnt lgkmcnt(0)
	ds_read_b128 v[0:3], v234 offset:1040
	ds_read_b128 v[8:11], v234
	ds_read_b128 v[52:55], v234 offset:208
	ds_read_b128 v[56:59], v234 offset:2080
	;; [unrolled: 1-line block ×10, first 2 shown]
	s_waitcnt lgkmcnt(11)
	v_mul_f64 v[4:5], v[134:135], v[2:3]
	v_mul_f64 v[12:13], v[134:135], v[0:1]
	s_waitcnt lgkmcnt(8)
	v_mul_f64 v[14:15], v[130:131], v[58:59]
	v_mul_f64 v[16:17], v[130:131], v[56:57]
	;; [unrolled: 3-line block ×4, first 2 shown]
	v_fma_f64 v[4:5], v[132:133], v[0:1], v[4:5]
	v_mul_f64 v[0:1], v[138:139], v[62:63]
	v_fma_f64 v[2:3], v[132:133], v[2:3], -v[12:13]
	v_fma_f64 v[12:13], v[128:129], v[56:57], v[14:15]
	v_fma_f64 v[14:15], v[128:129], v[58:59], -v[16:17]
	v_fma_f64 v[16:17], v[140:141], v[64:65], v[18:19]
	v_mul_f64 v[18:19], v[138:139], v[60:61]
	v_fma_f64 v[20:21], v[140:141], v[66:67], -v[20:21]
	s_waitcnt lgkmcnt(2)
	v_mul_f64 v[28:29], v[146:147], v[80:81]
	v_fma_f64 v[26:27], v[136:137], v[60:61], v[0:1]
	v_mul_f64 v[0:1], v[146:147], v[82:83]
	s_waitcnt lgkmcnt(1)
	v_mul_f64 v[34:35], v[154:155], v[86:87]
	v_add_f64 v[40:41], v[4:5], v[12:13]
	v_add_f64 v[56:57], v[2:3], -v[14:15]
	v_fma_f64 v[18:19], v[136:137], v[62:63], -v[18:19]
	v_add_f64 v[58:59], v[2:3], v[14:15]
	v_add_f64 v[2:3], v[10:11], v[2:3]
	ds_read_b128 v[92:95], v234 offset:1664
	ds_read_b128 v[96:99], v234 offset:1872
	v_fma_f64 v[36:37], v[144:145], v[80:81], v[0:1]
	v_mul_f64 v[0:1], v[154:155], v[84:85]
	v_fma_f64 v[22:23], v[148:149], v[68:69], v[22:23]
	s_waitcnt lgkmcnt(1)
	v_mul_f64 v[30:31], v[158:159], v[94:95]
	v_fma_f64 v[24:25], v[148:149], v[70:71], -v[24:25]
	v_fma_f64 v[28:29], v[144:145], v[82:83], -v[28:29]
	v_fma_f64 v[40:41], v[40:41], -0.5, v[8:9]
	v_add_f64 v[60:61], v[16:17], v[26:27]
	v_fma_f64 v[58:59], v[58:59], -0.5, v[10:11]
	v_fma_f64 v[86:87], v[152:153], v[86:87], -v[0:1]
	v_add_f64 v[0:1], v[8:9], v[4:5]
	v_add_f64 v[4:5], v[4:5], -v[12:13]
	v_add_f64 v[2:3], v[2:3], v[14:15]
	v_add_f64 v[14:15], v[20:21], v[18:19]
	ds_read_b128 v[100:103], v234 offset:2912
	s_mov_b32 s0, 0xe8584caa
	s_mov_b32 s1, 0xbfebb67a
	;; [unrolled: 1-line block ×3, first 2 shown]
	v_add_f64 v[0:1], v[0:1], v[12:13]
	v_add_f64 v[12:13], v[52:53], v[16:17]
	s_mov_b32 s2, s0
	v_mul_f64 v[32:33], v[158:159], v[92:93]
	v_fma_f64 v[30:31], v[156:157], v[92:93], v[30:31]
	s_waitcnt lgkmcnt(1)
	v_mul_f64 v[38:39], v[166:167], v[98:99]
	v_fma_f64 v[34:35], v[152:153], v[84:85], v[34:35]
	v_mul_f64 v[42:43], v[166:167], v[96:97]
	s_waitcnt lgkmcnt(0)
	v_mul_f64 v[44:45], v[162:163], v[102:103]
	v_mul_f64 v[46:47], v[162:163], v[100:101]
	v_fma_f64 v[8:9], v[56:57], s[0:1], v[40:41]
	v_fma_f64 v[56:57], v[56:57], s[2:3], v[40:41]
	v_fma_f64 v[40:41], v[60:61], -0.5, v[52:53]
	v_add_f64 v[62:63], v[20:21], -v[18:19]
	v_fma_f64 v[10:11], v[4:5], s[2:3], v[58:59]
	v_add_f64 v[20:21], v[54:55], v[20:21]
	v_fma_f64 v[58:59], v[4:5], s[0:1], v[58:59]
	v_add_f64 v[52:53], v[12:13], v[26:27]
	v_add_f64 v[4:5], v[22:23], v[36:37]
	v_fma_f64 v[12:13], v[14:15], -0.5, v[54:55]
	v_add_f64 v[14:15], v[16:17], -v[26:27]
	v_add_f64 v[16:17], v[24:25], v[28:29]
	v_fma_f64 v[32:33], v[156:157], v[94:95], -v[32:33]
	v_fma_f64 v[38:39], v[164:165], v[96:97], v[38:39]
	v_fma_f64 v[42:43], v[164:165], v[98:99], -v[42:43]
	v_fma_f64 v[44:45], v[160:161], v[100:101], v[44:45]
	;; [unrolled: 2-line block ×3, first 2 shown]
	v_fma_f64 v[64:65], v[62:63], s[2:3], v[40:41]
	v_add_f64 v[54:55], v[20:21], v[18:19]
	v_add_f64 v[18:19], v[72:73], v[22:23]
	v_fma_f64 v[4:5], v[4:5], -0.5, v[72:73]
	v_add_f64 v[20:21], v[24:25], -v[28:29]
	v_fma_f64 v[62:63], v[14:15], s[2:3], v[12:13]
	v_add_f64 v[26:27], v[30:31], v[34:35]
	v_fma_f64 v[66:67], v[14:15], s[0:1], v[12:13]
	v_add_f64 v[12:13], v[74:75], v[24:25]
	v_fma_f64 v[14:15], v[16:17], -0.5, v[74:75]
	v_add_f64 v[16:17], v[22:23], -v[36:37]
	v_add_f64 v[68:69], v[18:19], v[36:37]
	v_fma_f64 v[72:73], v[20:21], s[0:1], v[4:5]
	v_add_f64 v[18:19], v[76:77], v[30:31]
	v_fma_f64 v[22:23], v[26:27], -0.5, v[76:77]
	v_add_f64 v[24:25], v[32:33], -v[86:87]
	v_fma_f64 v[80:81], v[20:21], s[2:3], v[4:5]
	v_add_f64 v[70:71], v[12:13], v[28:29]
	v_fma_f64 v[74:75], v[16:17], s[2:3], v[14:15]
	v_add_f64 v[4:5], v[32:33], v[86:87]
	;; [unrolled: 2-line block ×3, first 2 shown]
	v_add_f64 v[14:15], v[42:43], v[46:47]
	v_add_f64 v[76:77], v[18:19], v[34:35]
	v_fma_f64 v[84:85], v[24:25], s[0:1], v[22:23]
	v_fma_f64 v[92:93], v[24:25], s[2:3], v[22:23]
	v_add_f64 v[16:17], v[78:79], v[32:33]
	v_fma_f64 v[4:5], v[4:5], -0.5, v[78:79]
	v_add_f64 v[18:19], v[30:31], -v[34:35]
	v_add_f64 v[20:21], v[88:89], v[38:39]
	v_fma_f64 v[12:13], v[12:13], -0.5, v[88:89]
	v_add_f64 v[22:23], v[42:43], -v[46:47]
	;; [unrolled: 3-line block ×3, first 2 shown]
	v_add_f64 v[78:79], v[16:17], v[86:87]
	v_fma_f64 v[86:87], v[18:19], s[2:3], v[4:5]
	v_fma_f64 v[94:95], v[18:19], s[0:1], v[4:5]
	v_add_f64 v[88:89], v[20:21], v[44:45]
	v_fma_f64 v[96:97], v[22:23], s[0:1], v[12:13]
	v_fma_f64 v[100:101], v[22:23], s[2:3], v[12:13]
	;; [unrolled: 3-line block ×3, first 2 shown]
	ds_write_b128 v234, v[0:3]
	ds_write_b128 v6, v[8:11] offset:1040
	ds_write_b128 v6, v[56:59] offset:2080
	;; [unrolled: 1-line block ×14, first 2 shown]
	s_waitcnt lgkmcnt(0)
	; wave barrier
	s_waitcnt lgkmcnt(0)
	ds_read_b128 v[0:3], v234
	buffer_load_dword v4, off, s[48:51], 0 offset:4 ; 4-byte Folded Reload
	buffer_load_dword v5, off, s[48:51], 0 offset:8 ; 4-byte Folded Reload
	buffer_load_dword v31, off, s[48:51], 0 ; 4-byte Folded Reload
	ds_read_b128 v[7:10], v234 offset:240
	buffer_load_dword v18, off, s[48:51], 0 offset:140 ; 4-byte Folded Reload
	buffer_load_dword v19, off, s[48:51], 0 offset:144 ; 4-byte Folded Reload
	;; [unrolled: 1-line block ×4, first 2 shown]
	s_waitcnt lgkmcnt(1)
	v_mul_f64 v[11:12], v[50:51], v[2:3]
	v_mul_f64 v[13:14], v[50:51], v[0:1]
	s_mov_b32 s2, 0x15015015
	s_mov_b32 s3, 0x3f750150
	s_mul_hi_u32 s4, s8, 0xf0
	s_mul_i32 s5, s8, 0xf0
	v_fma_f64 v[0:1], v[48:49], v[0:1], v[11:12]
	v_fma_f64 v[2:3], v[48:49], v[2:3], -v[13:14]
	v_mul_f64 v[48:49], v[0:1], s[2:3]
	v_mul_f64 v[50:51], v[2:3], s[2:3]
	v_mov_b32_e32 v3, s7
	s_waitcnt vmcnt(6)
	v_mov_b32_e32 v15, v4
	s_waitcnt vmcnt(5)
	v_mad_u64_u32 v[4:5], s[0:1], s10, v15, 0
	v_mad_u64_u32 v[15:16], s[0:1], s11, v15, v[5:6]
	s_waitcnt vmcnt(4)
	v_mad_u64_u32 v[16:17], s[0:1], s8, v31, 0
	v_mov_b32_e32 v5, v15
	v_lshlrev_b64 v[0:1], 4, v[4:5]
	v_mov_b32_e32 v11, v17
	v_mad_u64_u32 v[11:12], s[0:1], s9, v31, v[11:12]
	s_waitcnt vmcnt(0) lgkmcnt(0)
	v_mul_f64 v[4:5], v[20:21], v[9:10]
	v_add_co_u32_e64 v2, s[0:1], s6, v0
	v_mov_b32_e32 v17, v11
	v_mul_f64 v[11:12], v[20:21], v[7:8]
	v_addc_co_u32_e64 v3, s[0:1], v3, v1, s[0:1]
	v_lshlrev_b64 v[0:1], 4, v[16:17]
	v_fma_f64 v[4:5], v[18:19], v[7:8], v[4:5]
	v_add_co_u32_e64 v0, s[0:1], v2, v0
	v_addc_co_u32_e64 v1, s[0:1], v3, v1, s[0:1]
	global_store_dwordx4 v[0:1], v[48:51], off
	v_fma_f64 v[11:12], v[18:19], v[9:10], -v[11:12]
	ds_read_b128 v[7:10], v234 offset:480
	ds_read_b128 v[48:51], v234 offset:720
	buffer_load_dword v16, off, s[48:51], 0 offset:188 ; 4-byte Folded Reload
	buffer_load_dword v17, off, s[48:51], 0 offset:192 ; 4-byte Folded Reload
	;; [unrolled: 1-line block ×4, first 2 shown]
	v_mul_f64 v[32:33], v[4:5], s[2:3]
	s_mul_i32 s0, s9, 0xf0
	s_add_i32 s4, s4, s0
	v_mov_b32_e32 v15, s4
	v_mul_f64 v[34:35], v[11:12], s[2:3]
	v_add_co_u32_e64 v0, s[0:1], s5, v0
	v_addc_co_u32_e64 v1, s[0:1], v1, v15, s[0:1]
	v_mov_b32_e32 v30, s4
	s_waitcnt vmcnt(0) lgkmcnt(1)
	v_mul_f64 v[4:5], v[18:19], v[9:10]
	v_mul_f64 v[13:14], v[18:19], v[7:8]
	buffer_load_dword v18, off, s[48:51], 0 offset:92 ; 4-byte Folded Reload
	buffer_load_dword v19, off, s[48:51], 0 offset:96 ; 4-byte Folded Reload
	;; [unrolled: 1-line block ×4, first 2 shown]
	v_fma_f64 v[4:5], v[16:17], v[7:8], v[4:5]
	global_store_dwordx4 v[0:1], v[32:35], off
	v_fma_f64 v[9:10], v[16:17], v[9:10], -v[13:14]
	ds_read_b128 v[32:35], v234 offset:960
	v_mov_b32_e32 v17, s4
	v_add_co_u32_e64 v0, s[0:1], s5, v0
	v_addc_co_u32_e64 v1, s[0:1], v1, v17, s[0:1]
	v_mul_f64 v[7:8], v[4:5], s[2:3]
	v_mul_f64 v[9:10], v[9:10], s[2:3]
	s_waitcnt vmcnt(1) lgkmcnt(1)
	v_mul_f64 v[11:12], v[20:21], v[50:51]
	v_mul_f64 v[13:14], v[20:21], v[48:49]
	ds_read_b128 v[20:23], v234 offset:1200
	buffer_load_dword v24, off, s[48:51], 0 offset:172 ; 4-byte Folded Reload
	buffer_load_dword v25, off, s[48:51], 0 offset:176 ; 4-byte Folded Reload
	;; [unrolled: 1-line block ×4, first 2 shown]
	v_fma_f64 v[4:5], v[18:19], v[48:49], v[11:12]
	v_fma_f64 v[11:12], v[18:19], v[50:51], -v[13:14]
	global_store_dwordx4 v[0:1], v[7:10], off
	v_add_co_u32_e64 v0, s[0:1], s5, v0
	v_addc_co_u32_e64 v1, s[0:1], v1, v17, s[0:1]
	v_mul_f64 v[7:8], v[4:5], s[2:3]
	v_mul_f64 v[9:10], v[11:12], s[2:3]
	s_waitcnt vmcnt(1) lgkmcnt(1)
	v_mul_f64 v[13:14], v[26:27], v[34:35]
	v_mul_f64 v[15:16], v[26:27], v[32:33]
	v_fma_f64 v[4:5], v[24:25], v[32:33], v[13:14]
	v_fma_f64 v[11:12], v[24:25], v[34:35], -v[15:16]
	buffer_load_dword v25, off, s[48:51], 0 offset:76 ; 4-byte Folded Reload
	buffer_load_dword v26, off, s[48:51], 0 offset:80 ; 4-byte Folded Reload
	;; [unrolled: 1-line block ×4, first 2 shown]
	ds_read_b128 v[32:35], v234 offset:1440
	global_store_dwordx4 v[0:1], v[7:10], off
	v_mov_b32_e32 v24, s4
	v_add_co_u32_e64 v0, s[0:1], s5, v0
	v_mul_f64 v[7:8], v[4:5], s[2:3]
	v_mul_f64 v[9:10], v[11:12], s[2:3]
	v_addc_co_u32_e64 v1, s[0:1], v1, v24, s[0:1]
	s_waitcnt vmcnt(1) lgkmcnt(1)
	v_mul_f64 v[13:14], v[27:28], v[22:23]
	v_mul_f64 v[15:16], v[27:28], v[20:21]
	v_fma_f64 v[4:5], v[25:26], v[20:21], v[13:14]
	v_fma_f64 v[11:12], v[25:26], v[22:23], -v[15:16]
	ds_read_b128 v[16:19], v234 offset:1680
	buffer_load_dword v25, off, s[48:51], 0 offset:156 ; 4-byte Folded Reload
	buffer_load_dword v26, off, s[48:51], 0 offset:160 ; 4-byte Folded Reload
	;; [unrolled: 1-line block ×4, first 2 shown]
	v_mov_b32_e32 v15, s4
	global_store_dwordx4 v[0:1], v[7:10], off
	v_add_co_u32_e64 v0, s[0:1], s5, v0
	v_mul_f64 v[7:8], v[4:5], s[2:3]
	v_mul_f64 v[9:10], v[11:12], s[2:3]
	v_addc_co_u32_e64 v1, s[0:1], v1, v15, s[0:1]
	s_waitcnt vmcnt(1) lgkmcnt(1)
	v_mul_f64 v[13:14], v[27:28], v[34:35]
	v_mul_f64 v[20:21], v[27:28], v[32:33]
	v_fma_f64 v[4:5], v[25:26], v[32:33], v[13:14]
	v_fma_f64 v[11:12], v[25:26], v[34:35], -v[20:21]
	buffer_load_dword v26, off, s[48:51], 0 offset:44 ; 4-byte Folded Reload
	buffer_load_dword v27, off, s[48:51], 0 offset:48 ; 4-byte Folded Reload
	;; [unrolled: 1-line block ×4, first 2 shown]
	ds_read_b128 v[20:23], v234 offset:1920
	global_store_dwordx4 v[0:1], v[7:10], off
	v_add_co_u32_e64 v0, s[0:1], s5, v0
	v_addc_co_u32_e64 v1, s[0:1], v1, v15, s[0:1]
	v_mul_f64 v[7:8], v[4:5], s[2:3]
	v_mul_f64 v[9:10], v[11:12], s[2:3]
	s_waitcnt vmcnt(1) lgkmcnt(1)
	v_mul_f64 v[13:14], v[28:29], v[18:19]
	v_mul_f64 v[24:25], v[28:29], v[16:17]
	v_fma_f64 v[4:5], v[26:27], v[16:17], v[13:14]
	v_fma_f64 v[11:12], v[26:27], v[18:19], -v[24:25]
	ds_read_b128 v[16:19], v234 offset:2160
	buffer_load_dword v26, off, s[48:51], 0 offset:124 ; 4-byte Folded Reload
	buffer_load_dword v27, off, s[48:51], 0 offset:128 ; 4-byte Folded Reload
	;; [unrolled: 1-line block ×4, first 2 shown]
	s_waitcnt vmcnt(0) lgkmcnt(1)
	v_mul_f64 v[13:14], v[28:29], v[22:23]
	v_mul_f64 v[24:25], v[28:29], v[20:21]
	global_store_dwordx4 v[0:1], v[7:10], off
	v_add_co_u32_e64 v0, s[0:1], s5, v0
	v_mul_f64 v[7:8], v[4:5], s[2:3]
	v_mul_f64 v[9:10], v[11:12], s[2:3]
	v_addc_co_u32_e64 v1, s[0:1], v1, v15, s[0:1]
	v_fma_f64 v[4:5], v[26:27], v[20:21], v[13:14]
	v_fma_f64 v[11:12], v[26:27], v[22:23], -v[24:25]
	buffer_load_dword v26, off, s[48:51], 0 offset:28 ; 4-byte Folded Reload
	buffer_load_dword v27, off, s[48:51], 0 offset:32 ; 4-byte Folded Reload
	;; [unrolled: 1-line block ×4, first 2 shown]
	ds_read_b128 v[20:23], v234 offset:2400
	global_store_dwordx4 v[0:1], v[7:10], off
	v_add_co_u32_e64 v0, s[0:1], s5, v0
	v_mul_f64 v[7:8], v[4:5], s[2:3]
	v_mul_f64 v[9:10], v[11:12], s[2:3]
	v_addc_co_u32_e64 v1, s[0:1], v1, v15, s[0:1]
	s_waitcnt vmcnt(1) lgkmcnt(1)
	v_mul_f64 v[13:14], v[28:29], v[18:19]
	v_mul_f64 v[24:25], v[28:29], v[16:17]
	v_fma_f64 v[4:5], v[26:27], v[16:17], v[13:14]
	v_fma_f64 v[11:12], v[26:27], v[18:19], -v[24:25]
	ds_read_b128 v[16:19], v234 offset:2640
	buffer_load_dword v26, off, s[48:51], 0 offset:108 ; 4-byte Folded Reload
	buffer_load_dword v27, off, s[48:51], 0 offset:112 ; 4-byte Folded Reload
	;; [unrolled: 1-line block ×4, first 2 shown]
	s_waitcnt vmcnt(0) lgkmcnt(1)
	v_mul_f64 v[13:14], v[28:29], v[22:23]
	v_mul_f64 v[24:25], v[28:29], v[20:21]
	global_store_dwordx4 v[0:1], v[7:10], off
	v_add_co_u32_e64 v0, s[0:1], s5, v0
	v_mul_f64 v[7:8], v[4:5], s[2:3]
	v_mul_f64 v[9:10], v[11:12], s[2:3]
	v_addc_co_u32_e64 v1, s[0:1], v1, v15, s[0:1]
	v_fma_f64 v[4:5], v[26:27], v[20:21], v[13:14]
	v_fma_f64 v[11:12], v[26:27], v[22:23], -v[24:25]
	ds_read_b128 v[20:23], v234 offset:2880
	buffer_load_dword v32, off, s[48:51], 0 offset:12 ; 4-byte Folded Reload
	buffer_load_dword v33, off, s[48:51], 0 offset:16 ; 4-byte Folded Reload
	;; [unrolled: 1-line block ×4, first 2 shown]
	s_waitcnt vmcnt(0) lgkmcnt(1)
	v_mul_f64 v[13:14], v[34:35], v[18:19]
	v_mul_f64 v[24:25], v[34:35], v[16:17]
	buffer_load_dword v34, off, s[48:51], 0 offset:60 ; 4-byte Folded Reload
	buffer_load_dword v35, off, s[48:51], 0 offset:64 ; 4-byte Folded Reload
	;; [unrolled: 1-line block ×4, first 2 shown]
	s_waitcnt vmcnt(0) lgkmcnt(0)
	v_mul_f64 v[26:27], v[36:37], v[22:23]
	v_mul_f64 v[28:29], v[36:37], v[20:21]
	global_store_dwordx4 v[0:1], v[7:10], off
	v_add_co_u32_e64 v0, s[0:1], s5, v0
	v_mul_f64 v[7:8], v[4:5], s[2:3]
	v_mul_f64 v[9:10], v[11:12], s[2:3]
	v_fma_f64 v[4:5], v[32:33], v[16:17], v[13:14]
	v_fma_f64 v[11:12], v[32:33], v[18:19], -v[24:25]
	v_fma_f64 v[13:14], v[34:35], v[20:21], v[26:27]
	v_fma_f64 v[15:16], v[34:35], v[22:23], -v[28:29]
	v_addc_co_u32_e64 v1, s[0:1], v1, v30, s[0:1]
	global_store_dwordx4 v[0:1], v[7:10], off
	s_nop 0
	v_mul_f64 v[7:8], v[4:5], s[2:3]
	v_mul_f64 v[9:10], v[11:12], s[2:3]
	;; [unrolled: 1-line block ×4, first 2 shown]
	v_mov_b32_e32 v4, s4
	v_add_co_u32_e64 v0, s[0:1], s5, v0
	v_addc_co_u32_e64 v1, s[0:1], v1, v4, s[0:1]
	global_store_dwordx4 v[0:1], v[7:10], off
	v_add_co_u32_e64 v0, s[0:1], s5, v0
	v_addc_co_u32_e64 v1, s[0:1], v1, v4, s[0:1]
	global_store_dwordx4 v[0:1], v[11:14], off
	s_and_b64 exec, exec, vcc
	s_cbranch_execz .LBB0_15
; %bb.14:
	global_load_dwordx4 v[7:10], v[232:233], off offset:208
	ds_read_b128 v[11:14], v6 offset:208
	s_mul_hi_u32 s4, s8, 0x1e0
	s_waitcnt vmcnt(0) lgkmcnt(0)
	v_mul_f64 v[4:5], v[13:14], v[9:10]
	v_mul_f64 v[9:10], v[11:12], v[9:10]
	v_fma_f64 v[4:5], v[11:12], v[7:8], v[4:5]
	v_fma_f64 v[6:7], v[7:8], v[13:14], -v[9:10]
	v_mov_b32_e32 v8, 0xfffff590
	v_mad_u64_u32 v[0:1], s[0:1], s8, v8, v[0:1]
	s_mul_i32 s0, s9, 0xfffff590
	s_sub_i32 s0, s0, s8
	v_add_u32_e32 v1, s0, v1
	v_mul_f64 v[4:5], v[4:5], s[2:3]
	v_mul_f64 v[6:7], v[6:7], s[2:3]
	global_store_dwordx4 v[0:1], v[4:7], off
	global_load_dwordx4 v[4:7], v[232:233], off offset:448
	ds_read_b128 v[8:11], v234 offset:448
	ds_read_b128 v[12:15], v234 offset:688
	buffer_load_dword v20, off, s[48:51], 0 offset:208 ; 4-byte Folded Reload
	s_waitcnt vmcnt(1) lgkmcnt(1)
	v_mul_f64 v[16:17], v[10:11], v[6:7]
	v_mul_f64 v[6:7], v[8:9], v[6:7]
	s_waitcnt vmcnt(0)
	v_mad_u64_u32 v[18:19], s[0:1], s8, v20, 0
	v_fma_f64 v[8:9], v[8:9], v[4:5], v[16:17]
	v_fma_f64 v[6:7], v[4:5], v[10:11], -v[6:7]
	v_mov_b32_e32 v4, v19
	v_mad_u64_u32 v[10:11], s[0:1], s9, v20, v[4:5]
	s_mul_i32 s1, s9, 0x1e0
	s_mul_i32 s0, s8, 0x1e0
	v_mov_b32_e32 v19, v10
	v_mul_f64 v[4:5], v[8:9], s[2:3]
	v_mul_f64 v[6:7], v[6:7], s[2:3]
	v_lshlrev_b64 v[8:9], 4, v[18:19]
	s_add_i32 s1, s4, s1
	v_add_co_u32_e32 v8, vcc, v2, v8
	v_addc_co_u32_e32 v9, vcc, v3, v9, vcc
	v_add_co_u32_e32 v0, vcc, s0, v0
	global_store_dwordx4 v[8:9], v[4:7], off
	global_load_dwordx4 v[4:7], v[232:233], off offset:688
	s_waitcnt vmcnt(0) lgkmcnt(0)
	v_mul_f64 v[8:9], v[14:15], v[6:7]
	v_mul_f64 v[6:7], v[12:13], v[6:7]
	v_fma_f64 v[8:9], v[12:13], v[4:5], v[8:9]
	v_fma_f64 v[6:7], v[4:5], v[14:15], -v[6:7]
	v_mul_f64 v[4:5], v[8:9], s[2:3]
	v_mul_f64 v[6:7], v[6:7], s[2:3]
	v_mov_b32_e32 v8, s1
	v_addc_co_u32_e32 v1, vcc, v1, v8, vcc
	global_store_dwordx4 v[0:1], v[4:7], off
	global_load_dwordx4 v[4:7], v[232:233], off offset:928
	ds_read_b128 v[8:11], v234 offset:928
	ds_read_b128 v[12:15], v234 offset:1168
	buffer_load_dword v20, off, s[48:51], 0 offset:204 ; 4-byte Folded Reload
	s_waitcnt vmcnt(1) lgkmcnt(1)
	v_mul_f64 v[16:17], v[10:11], v[6:7]
	v_mul_f64 v[6:7], v[8:9], v[6:7]
	s_waitcnt vmcnt(0)
	v_mad_u64_u32 v[18:19], s[4:5], s8, v20, 0
	v_fma_f64 v[8:9], v[8:9], v[4:5], v[16:17]
	v_fma_f64 v[6:7], v[4:5], v[10:11], -v[6:7]
	v_mov_b32_e32 v4, v19
	v_mad_u64_u32 v[10:11], s[4:5], s9, v20, v[4:5]
	v_or_b32_e32 v20, 0x58, v31
	v_mov_b32_e32 v19, v10
	v_mul_f64 v[4:5], v[8:9], s[2:3]
	v_mul_f64 v[6:7], v[6:7], s[2:3]
	v_lshlrev_b64 v[8:9], 4, v[18:19]
	v_mad_u64_u32 v[18:19], s[4:5], s8, v20, 0
	v_add_co_u32_e32 v8, vcc, v2, v8
	v_addc_co_u32_e32 v9, vcc, v3, v9, vcc
	global_store_dwordx4 v[8:9], v[4:7], off
	global_load_dwordx4 v[4:7], v[232:233], off offset:1168
	v_add_co_u32_e32 v0, vcc, s0, v0
	s_waitcnt vmcnt(0) lgkmcnt(0)
	v_mul_f64 v[8:9], v[14:15], v[6:7]
	v_mul_f64 v[6:7], v[12:13], v[6:7]
	v_fma_f64 v[8:9], v[12:13], v[4:5], v[8:9]
	v_fma_f64 v[6:7], v[4:5], v[14:15], -v[6:7]
	v_mul_f64 v[4:5], v[8:9], s[2:3]
	v_mul_f64 v[6:7], v[6:7], s[2:3]
	v_mov_b32_e32 v8, s1
	v_addc_co_u32_e32 v1, vcc, v1, v8, vcc
	global_store_dwordx4 v[0:1], v[4:7], off
	global_load_dwordx4 v[4:7], v[232:233], off offset:1408
	ds_read_b128 v[8:11], v234 offset:1408
	ds_read_b128 v[12:15], v234 offset:1648
	s_waitcnt vmcnt(0) lgkmcnt(1)
	v_mul_f64 v[16:17], v[10:11], v[6:7]
	v_mul_f64 v[6:7], v[8:9], v[6:7]
	v_fma_f64 v[8:9], v[8:9], v[4:5], v[16:17]
	v_fma_f64 v[6:7], v[4:5], v[10:11], -v[6:7]
	v_mov_b32_e32 v4, v19
	v_mad_u64_u32 v[10:11], s[4:5], s9, v20, v[4:5]
	v_or_b32_e32 v20, 0x76, v31
	v_mov_b32_e32 v19, v10
	v_mul_f64 v[4:5], v[8:9], s[2:3]
	v_mul_f64 v[6:7], v[6:7], s[2:3]
	v_lshlrev_b64 v[8:9], 4, v[18:19]
	v_mad_u64_u32 v[18:19], s[4:5], s8, v20, 0
	v_add_co_u32_e32 v8, vcc, v2, v8
	v_addc_co_u32_e32 v9, vcc, v3, v9, vcc
	global_store_dwordx4 v[8:9], v[4:7], off
	global_load_dwordx4 v[4:7], v[232:233], off offset:1648
	v_add_co_u32_e32 v0, vcc, s0, v0
	s_waitcnt vmcnt(0) lgkmcnt(0)
	v_mul_f64 v[8:9], v[14:15], v[6:7]
	v_mul_f64 v[6:7], v[12:13], v[6:7]
	v_fma_f64 v[8:9], v[12:13], v[4:5], v[8:9]
	v_fma_f64 v[6:7], v[4:5], v[14:15], -v[6:7]
	v_mul_f64 v[4:5], v[8:9], s[2:3]
	v_mul_f64 v[6:7], v[6:7], s[2:3]
	v_mov_b32_e32 v8, s1
	v_addc_co_u32_e32 v1, vcc, v1, v8, vcc
	global_store_dwordx4 v[0:1], v[4:7], off
	global_load_dwordx4 v[4:7], v[232:233], off offset:1888
	ds_read_b128 v[8:11], v234 offset:1888
	ds_read_b128 v[12:15], v234 offset:2128
	s_waitcnt vmcnt(0) lgkmcnt(1)
	v_mul_f64 v[16:17], v[10:11], v[6:7]
	v_mul_f64 v[6:7], v[8:9], v[6:7]
	;; [unrolled: 31-line block ×3, first 2 shown]
	v_fma_f64 v[8:9], v[8:9], v[4:5], v[16:17]
	v_fma_f64 v[6:7], v[4:5], v[10:11], -v[6:7]
	v_mov_b32_e32 v4, v19
	v_mad_u64_u32 v[10:11], s[4:5], s9, v20, v[4:5]
	v_mov_b32_e32 v19, v10
	v_mul_f64 v[4:5], v[8:9], s[2:3]
	v_mul_f64 v[6:7], v[6:7], s[2:3]
	v_lshlrev_b64 v[8:9], 4, v[18:19]
	v_or_b32_e32 v18, 0xb2, v31
	v_add_co_u32_e32 v8, vcc, v2, v8
	v_addc_co_u32_e32 v9, vcc, v3, v9, vcc
	v_add_co_u32_e32 v16, vcc, s0, v0
	global_store_dwordx4 v[8:9], v[4:7], off
	global_load_dwordx4 v[4:7], v[232:233], off offset:2608
	s_waitcnt vmcnt(0) lgkmcnt(0)
	v_mul_f64 v[8:9], v[14:15], v[6:7]
	v_mul_f64 v[6:7], v[12:13], v[6:7]
	v_fma_f64 v[8:9], v[12:13], v[4:5], v[8:9]
	v_fma_f64 v[6:7], v[4:5], v[14:15], -v[6:7]
	v_mul_f64 v[4:5], v[8:9], s[2:3]
	v_mul_f64 v[6:7], v[6:7], s[2:3]
	v_mov_b32_e32 v8, s1
	v_addc_co_u32_e32 v17, vcc, v1, v8, vcc
	global_store_dwordx4 v[16:17], v[4:7], off
	global_load_dwordx4 v[4:7], v[232:233], off offset:2848
	ds_read_b128 v[8:11], v234 offset:2848
	ds_read_b128 v[12:15], v234 offset:3088
	s_waitcnt vmcnt(0) lgkmcnt(1)
	v_mul_f64 v[0:1], v[10:11], v[6:7]
	v_mul_f64 v[6:7], v[8:9], v[6:7]
	v_fma_f64 v[0:1], v[8:9], v[4:5], v[0:1]
	v_fma_f64 v[6:7], v[4:5], v[10:11], -v[6:7]
	v_mad_u64_u32 v[8:9], s[4:5], s8, v18, 0
	v_mov_b32_e32 v4, v9
	v_mad_u64_u32 v[9:10], s[4:5], s9, v18, v[4:5]
	v_mul_f64 v[4:5], v[0:1], s[2:3]
	v_mul_f64 v[6:7], v[6:7], s[2:3]
	v_lshlrev_b64 v[0:1], 4, v[8:9]
	v_add_co_u32_e32 v0, vcc, v2, v0
	v_addc_co_u32_e32 v1, vcc, v3, v1, vcc
	global_store_dwordx4 v[0:1], v[4:7], off
	global_load_dwordx4 v[0:3], v[232:233], off offset:3088
	s_waitcnt vmcnt(0) lgkmcnt(0)
	v_mul_f64 v[4:5], v[14:15], v[2:3]
	v_mul_f64 v[2:3], v[12:13], v[2:3]
	v_fma_f64 v[4:5], v[12:13], v[0:1], v[4:5]
	v_fma_f64 v[2:3], v[0:1], v[14:15], -v[2:3]
	v_mul_f64 v[0:1], v[4:5], s[2:3]
	v_mul_f64 v[2:3], v[2:3], s[2:3]
	v_mov_b32_e32 v5, s1
	v_add_co_u32_e32 v4, vcc, s0, v16
	v_addc_co_u32_e32 v5, vcc, v17, v5, vcc
	global_store_dwordx4 v[4:5], v[0:3], off
.LBB0_15:
	s_endpgm
	.section	.rodata,"a",@progbits
	.p2align	6, 0x0
	.amdhsa_kernel bluestein_single_back_len195_dim1_dp_op_CI_CI
		.amdhsa_group_segment_fixed_size 12480
		.amdhsa_private_segment_fixed_size 216
		.amdhsa_kernarg_size 104
		.amdhsa_user_sgpr_count 6
		.amdhsa_user_sgpr_private_segment_buffer 1
		.amdhsa_user_sgpr_dispatch_ptr 0
		.amdhsa_user_sgpr_queue_ptr 0
		.amdhsa_user_sgpr_kernarg_segment_ptr 1
		.amdhsa_user_sgpr_dispatch_id 0
		.amdhsa_user_sgpr_flat_scratch_init 0
		.amdhsa_user_sgpr_private_segment_size 0
		.amdhsa_uses_dynamic_stack 0
		.amdhsa_system_sgpr_private_segment_wavefront_offset 1
		.amdhsa_system_sgpr_workgroup_id_x 1
		.amdhsa_system_sgpr_workgroup_id_y 0
		.amdhsa_system_sgpr_workgroup_id_z 0
		.amdhsa_system_sgpr_workgroup_info 0
		.amdhsa_system_vgpr_workitem_id 0
		.amdhsa_next_free_vgpr 256
		.amdhsa_next_free_sgpr 52
		.amdhsa_reserve_vcc 1
		.amdhsa_reserve_flat_scratch 0
		.amdhsa_float_round_mode_32 0
		.amdhsa_float_round_mode_16_64 0
		.amdhsa_float_denorm_mode_32 3
		.amdhsa_float_denorm_mode_16_64 3
		.amdhsa_dx10_clamp 1
		.amdhsa_ieee_mode 1
		.amdhsa_fp16_overflow 0
		.amdhsa_exception_fp_ieee_invalid_op 0
		.amdhsa_exception_fp_denorm_src 0
		.amdhsa_exception_fp_ieee_div_zero 0
		.amdhsa_exception_fp_ieee_overflow 0
		.amdhsa_exception_fp_ieee_underflow 0
		.amdhsa_exception_fp_ieee_inexact 0
		.amdhsa_exception_int_div_zero 0
	.end_amdhsa_kernel
	.text
.Lfunc_end0:
	.size	bluestein_single_back_len195_dim1_dp_op_CI_CI, .Lfunc_end0-bluestein_single_back_len195_dim1_dp_op_CI_CI
                                        ; -- End function
	.section	.AMDGPU.csdata,"",@progbits
; Kernel info:
; codeLenInByte = 29124
; NumSgprs: 56
; NumVgprs: 256
; ScratchSize: 216
; MemoryBound: 0
; FloatMode: 240
; IeeeMode: 1
; LDSByteSize: 12480 bytes/workgroup (compile time only)
; SGPRBlocks: 6
; VGPRBlocks: 63
; NumSGPRsForWavesPerEU: 56
; NumVGPRsForWavesPerEU: 256
; Occupancy: 1
; WaveLimiterHint : 1
; COMPUTE_PGM_RSRC2:SCRATCH_EN: 1
; COMPUTE_PGM_RSRC2:USER_SGPR: 6
; COMPUTE_PGM_RSRC2:TRAP_HANDLER: 0
; COMPUTE_PGM_RSRC2:TGID_X_EN: 1
; COMPUTE_PGM_RSRC2:TGID_Y_EN: 0
; COMPUTE_PGM_RSRC2:TGID_Z_EN: 0
; COMPUTE_PGM_RSRC2:TIDIG_COMP_CNT: 0
	.type	__hip_cuid_7e7e2a00fb55d52b,@object ; @__hip_cuid_7e7e2a00fb55d52b
	.section	.bss,"aw",@nobits
	.globl	__hip_cuid_7e7e2a00fb55d52b
__hip_cuid_7e7e2a00fb55d52b:
	.byte	0                               ; 0x0
	.size	__hip_cuid_7e7e2a00fb55d52b, 1

	.ident	"AMD clang version 19.0.0git (https://github.com/RadeonOpenCompute/llvm-project roc-6.4.0 25133 c7fe45cf4b819c5991fe208aaa96edf142730f1d)"
	.section	".note.GNU-stack","",@progbits
	.addrsig
	.addrsig_sym __hip_cuid_7e7e2a00fb55d52b
	.amdgpu_metadata
---
amdhsa.kernels:
  - .args:
      - .actual_access:  read_only
        .address_space:  global
        .offset:         0
        .size:           8
        .value_kind:     global_buffer
      - .actual_access:  read_only
        .address_space:  global
        .offset:         8
        .size:           8
        .value_kind:     global_buffer
      - .actual_access:  read_only
        .address_space:  global
        .offset:         16
        .size:           8
        .value_kind:     global_buffer
      - .actual_access:  read_only
        .address_space:  global
        .offset:         24
        .size:           8
        .value_kind:     global_buffer
      - .actual_access:  read_only
        .address_space:  global
        .offset:         32
        .size:           8
        .value_kind:     global_buffer
      - .offset:         40
        .size:           8
        .value_kind:     by_value
      - .address_space:  global
        .offset:         48
        .size:           8
        .value_kind:     global_buffer
      - .address_space:  global
        .offset:         56
        .size:           8
        .value_kind:     global_buffer
      - .address_space:  global
        .offset:         64
        .size:           8
        .value_kind:     global_buffer
      - .address_space:  global
        .offset:         72
        .size:           8
        .value_kind:     global_buffer
      - .offset:         80
        .size:           4
        .value_kind:     by_value
      - .address_space:  global
        .offset:         88
        .size:           8
        .value_kind:     global_buffer
      - .address_space:  global
        .offset:         96
        .size:           8
        .value_kind:     global_buffer
    .group_segment_fixed_size: 12480
    .kernarg_segment_align: 8
    .kernarg_segment_size: 104
    .language:       OpenCL C
    .language_version:
      - 2
      - 0
    .max_flat_workgroup_size: 52
    .name:           bluestein_single_back_len195_dim1_dp_op_CI_CI
    .private_segment_fixed_size: 216
    .sgpr_count:     56
    .sgpr_spill_count: 0
    .symbol:         bluestein_single_back_len195_dim1_dp_op_CI_CI.kd
    .uniform_work_group_size: 1
    .uses_dynamic_stack: false
    .vgpr_count:     256
    .vgpr_spill_count: 53
    .wavefront_size: 64
amdhsa.target:   amdgcn-amd-amdhsa--gfx906
amdhsa.version:
  - 1
  - 2
...

	.end_amdgpu_metadata
